;; amdgpu-corpus repo=ROCm/rocFFT kind=compiled arch=gfx950 opt=O3
	.text
	.amdgcn_target "amdgcn-amd-amdhsa--gfx950"
	.amdhsa_code_object_version 6
	.protected	bluestein_single_fwd_len1600_dim1_half_op_CI_CI ; -- Begin function bluestein_single_fwd_len1600_dim1_half_op_CI_CI
	.globl	bluestein_single_fwd_len1600_dim1_half_op_CI_CI
	.p2align	8
	.type	bluestein_single_fwd_len1600_dim1_half_op_CI_CI,@function
bluestein_single_fwd_len1600_dim1_half_op_CI_CI: ; @bluestein_single_fwd_len1600_dim1_half_op_CI_CI
; %bb.0:
	s_load_dwordx4 s[12:15], s[0:1], 0x28
	v_mul_u32_u24_e32 v1, 0x290, v0
	v_lshrrev_b32_e32 v4, 16, v1
	v_mov_b32_e32 v35, 0
	v_lshl_add_u32 v36, s2, 1, v4
	v_mov_b32_e32 v37, v35
	s_waitcnt lgkmcnt(0)
	v_cmp_gt_u64_e32 vcc, s[12:13], v[36:37]
	s_and_saveexec_b64 s[2:3], vcc
	s_cbranch_execz .LBB0_23
; %bb.1:
	s_load_dwordx4 s[4:7], s[0:1], 0x18
	s_load_dwordx2 s[12:13], s[0:1], 0x0
	v_mul_lo_u16_e32 v1, 0x64, v4
	v_sub_u16_e32 v34, v0, v1
	v_mov_b32_e32 v2, s14
	s_waitcnt lgkmcnt(0)
	s_load_dwordx4 s[8:11], s[4:5], 0x0
	v_mov_b32_e32 v3, s15
	v_or_b32_e32 v64, 0x280, v34
	v_mov_b32_e32 v17, 0x500
	v_or_b32_e32 v59, 0x500, v34
	s_waitcnt lgkmcnt(0)
	v_mad_u64_u32 v[0:1], s[2:3], s10, v36, 0
	v_mov_b32_e32 v6, v1
	v_mad_u64_u32 v[6:7], s[2:3], s11, v36, v[6:7]
	v_mov_b32_e32 v1, v6
	;; [unrolled: 2-line block ×4, first 2 shown]
	v_lshl_add_u64 v[2:3], v[0:1], 2, v[2:3]
	s_mul_i32 s2, s9, 0xa0
	s_mul_hi_u32 s3, s8, 0xa0
	v_lshl_add_u64 v[0:1], v[6:7], 2, v[2:3]
	v_lshlrev_b32_e32 v6, 2, v34
	s_add_i32 s3, s3, s2
	s_mul_i32 s2, s8, 0xa0
	global_load_dword v69, v6, s[12:13]
	global_load_dword v5, v[0:1], off
	s_lshl_b64 s[10:11], s[2:3], 2
	v_lshl_add_u64 v[0:1], v[0:1], 0, s[10:11]
	global_load_dword v14, v[0:1], off
	global_load_dword v68, v6, s[12:13] offset:640
	v_mov_b32_e32 v7, v35
	v_lshl_add_u64 v[0:1], v[0:1], 0, s[10:11]
	v_lshl_add_u64 v[32:33], s[12:13], 0, v[6:7]
	global_load_dword v7, v[0:1], off
	global_load_dword v67, v6, s[12:13] offset:1280
	v_lshl_add_u64 v[0:1], v[0:1], 0, s[10:11]
	v_mad_u64_u32 v[8:9], s[2:3], s8, v64, 0
	global_load_dword v15, v[0:1], off
	v_mov_b32_e32 v10, v9
	global_load_dword v66, v6, s[12:13] offset:1920
	global_load_dword v65, v6, s[12:13] offset:2560
	v_mad_u64_u32 v[10:11], s[2:3], s9, v64, v[10:11]
	v_mov_b32_e32 v9, v10
	v_lshl_add_u64 v[8:9], v[8:9], 2, v[2:3]
	global_load_dword v16, v[8:9], off
	v_mad_u64_u32 v[0:1], s[2:3], s8, v17, v[0:1]
	s_mul_i32 s4, s9, 0x500
	v_add_u32_e32 v1, s4, v1
	global_load_dword v18, v[0:1], off
	global_load_dword v63, v6, s[12:13] offset:3200
	v_lshl_add_u64 v[0:1], v[0:1], 0, s[10:11]
	global_load_dword v19, v[0:1], off
	global_load_dword v62, v6, s[12:13] offset:3840
	s_movk_i32 s2, 0x1000
	v_lshl_add_u64 v[8:9], v[0:1], 0, s[10:11]
	v_add_co_u32_e32 v0, vcc, s2, v32
	v_mad_u64_u32 v[10:11], s[2:3], s8, v59, 0
	global_load_dword v20, v[8:9], off
	v_addc_co_u32_e32 v1, vcc, 0, v33, vcc
	v_mov_b32_e32 v12, v11
	global_load_dword v61, v[0:1], off offset:384
	v_mad_u64_u32 v[12:13], s[2:3], s9, v59, v[12:13]
	v_mov_b32_e32 v11, v12
	v_lshl_add_u64 v[2:3], v[10:11], 2, v[2:3]
	global_load_dword v10, v[2:3], off
	v_lshlrev_b32_e32 v74, 2, v59
	global_load_dword v60, v74, s[12:13]
	v_mad_u64_u32 v[2:3], s[2:3], s8, v17, v[8:9]
	v_add_u32_e32 v3, s4, v3
	global_load_dword v8, v[2:3], off
	global_load_dword v58, v[0:1], off offset:1664
	v_and_b32_e32 v4, 1, v4
	v_mov_b32_e32 v9, 0x1900
	v_cmp_eq_u32_e32 vcc, 1, v4
	s_load_dwordx2 s[2:3], s[0:1], 0x38
	s_waitcnt vmcnt(18)
	v_lshrrev_b32_e32 v4, 16, v5
	v_cndmask_b32_e32 v31, 0, v9, vcc
	v_add_u32_e32 v37, v31, v6
	v_mul_f16_sdwa v6, v69, v5 dst_sel:DWORD dst_unused:UNUSED_PAD src0_sel:WORD_1 src1_sel:DWORD
	v_mul_f16_sdwa v9, v69, v4 dst_sel:DWORD dst_unused:UNUSED_PAD src0_sel:WORD_1 src1_sel:DWORD
	v_fma_f16 v4, v69, v4, -v6
	s_waitcnt vmcnt(17)
	v_lshrrev_b32_e32 v6, 16, v14
	v_fma_f16 v5, v69, v5, v9
	s_waitcnt vmcnt(16)
	v_mul_f16_sdwa v9, v68, v6 dst_sel:DWORD dst_unused:UNUSED_PAD src0_sel:WORD_1 src1_sel:DWORD
	v_pack_b32_f16 v4, v5, v4
	v_fma_f16 v5, v68, v14, v9
	v_mul_f16_sdwa v9, v68, v14 dst_sel:DWORD dst_unused:UNUSED_PAD src0_sel:WORD_1 src1_sel:DWORD
	v_fma_f16 v6, v68, v6, -v9
	v_pack_b32_f16 v5, v5, v6
	ds_write2_b32 v37, v4, v5 offset1:160
	s_waitcnt vmcnt(15)
	v_lshrrev_b32_e32 v4, 16, v7
	s_waitcnt vmcnt(14)
	v_mul_f16_sdwa v5, v67, v4 dst_sel:DWORD dst_unused:UNUSED_PAD src0_sel:WORD_1 src1_sel:DWORD
	v_mul_f16_sdwa v6, v67, v7 dst_sel:DWORD dst_unused:UNUSED_PAD src0_sel:WORD_1 src1_sel:DWORD
	v_fma_f16 v5, v67, v7, v5
	v_fma_f16 v4, v67, v4, -v6
	v_pack_b32_f16 v5, v5, v4
	s_waitcnt vmcnt(13)
	v_lshrrev_b32_e32 v4, 16, v15
	s_waitcnt vmcnt(12)
	v_mul_f16_sdwa v6, v66, v4 dst_sel:DWORD dst_unused:UNUSED_PAD src0_sel:WORD_1 src1_sel:DWORD
	v_mul_f16_sdwa v7, v66, v15 dst_sel:DWORD dst_unused:UNUSED_PAD src0_sel:WORD_1 src1_sel:DWORD
	v_fma_f16 v6, v66, v15, v6
	v_fma_f16 v4, v66, v4, -v7
	v_pack_b32_f16 v6, v6, v4
	v_add_u32_e32 v4, 0x400, v37
	ds_write2_b32 v4, v5, v6 offset0:64 offset1:224
	s_waitcnt vmcnt(10)
	v_lshrrev_b32_e32 v5, 16, v16
	v_mul_f16_sdwa v6, v65, v5 dst_sel:DWORD dst_unused:UNUSED_PAD src0_sel:WORD_1 src1_sel:DWORD
	v_mul_f16_sdwa v7, v65, v16 dst_sel:DWORD dst_unused:UNUSED_PAD src0_sel:WORD_1 src1_sel:DWORD
	v_fma_f16 v6, v65, v16, v6
	v_fma_f16 v5, v65, v5, -v7
	v_pack_b32_f16 v6, v6, v5
	s_waitcnt vmcnt(9)
	v_lshrrev_b32_e32 v5, 16, v18
	s_waitcnt vmcnt(8)
	v_mul_f16_sdwa v7, v63, v5 dst_sel:DWORD dst_unused:UNUSED_PAD src0_sel:WORD_1 src1_sel:DWORD
	v_mul_f16_sdwa v9, v63, v18 dst_sel:DWORD dst_unused:UNUSED_PAD src0_sel:WORD_1 src1_sel:DWORD
	v_fma_f16 v7, v63, v18, v7
	v_fma_f16 v5, v63, v5, -v9
	v_pack_b32_f16 v7, v7, v5
	v_add_u32_e32 v5, 0xa00, v37
	ds_write2_b32 v5, v6, v7 offset1:160
	s_waitcnt vmcnt(7)
	v_lshrrev_b32_e32 v6, 16, v19
	s_waitcnt vmcnt(6)
	v_mul_f16_sdwa v7, v62, v6 dst_sel:DWORD dst_unused:UNUSED_PAD src0_sel:WORD_1 src1_sel:DWORD
	v_mul_f16_sdwa v9, v62, v19 dst_sel:DWORD dst_unused:UNUSED_PAD src0_sel:WORD_1 src1_sel:DWORD
	v_fma_f16 v7, v62, v19, v7
	v_fma_f16 v6, v62, v6, -v9
	v_pack_b32_f16 v7, v7, v6
	s_waitcnt vmcnt(5)
	v_lshrrev_b32_e32 v6, 16, v20
	s_waitcnt vmcnt(4)
	v_mul_f16_sdwa v9, v61, v6 dst_sel:DWORD dst_unused:UNUSED_PAD src0_sel:WORD_1 src1_sel:DWORD
	v_mul_f16_sdwa v11, v61, v20 dst_sel:DWORD dst_unused:UNUSED_PAD src0_sel:WORD_1 src1_sel:DWORD
	v_fma_f16 v9, v61, v20, v9
	v_fma_f16 v6, v61, v6, -v11
	v_pack_b32_f16 v9, v9, v6
	v_add_u32_e32 v6, 0xe00, v37
	ds_write2_b32 v6, v7, v9 offset0:64 offset1:224
	s_waitcnt vmcnt(3)
	v_lshrrev_b32_e32 v7, 16, v10
	s_waitcnt vmcnt(2)
	v_mul_f16_sdwa v9, v60, v7 dst_sel:DWORD dst_unused:UNUSED_PAD src0_sel:WORD_1 src1_sel:DWORD
	v_fma_f16 v9, v60, v10, v9
	v_mul_f16_sdwa v10, v60, v10 dst_sel:DWORD dst_unused:UNUSED_PAD src0_sel:WORD_1 src1_sel:DWORD
	v_fma_f16 v7, v60, v7, -v10
	s_load_dwordx4 s[4:7], s[6:7], 0x0
	v_pack_b32_f16 v9, v9, v7
	s_waitcnt vmcnt(1)
	v_lshrrev_b32_e32 v7, 16, v8
	s_waitcnt vmcnt(0)
	v_mul_f16_sdwa v10, v58, v7 dst_sel:DWORD dst_unused:UNUSED_PAD src0_sel:WORD_1 src1_sel:DWORD
	v_fma_f16 v10, v58, v8, v10
	v_mul_f16_sdwa v8, v58, v8 dst_sel:DWORD dst_unused:UNUSED_PAD src0_sel:WORD_1 src1_sel:DWORD
	v_fma_f16 v7, v58, v7, -v8
	v_pack_b32_f16 v8, v10, v7
	v_add_u32_e32 v7, 0x1400, v37
	v_cmp_gt_u16_e32 vcc, 60, v34
	ds_write2_b32 v7, v9, v8 offset1:160
	s_and_saveexec_b64 s[14:15], vcc
	s_cbranch_execz .LBB0_3
; %bb.2:
	v_mov_b32_e32 v8, 0xffffeb10
	s_mulk_i32 s9, 0xeb10
	v_mad_u64_u32 v[2:3], s[16:17], s8, v8, v[2:3]
	s_sub_i32 s8, s9, s8
	v_add_u32_e32 v3, s8, v3
	global_load_dword v8, v[2:3], off
	global_load_dword v9, v[32:33], off offset:400
	v_lshl_add_u64 v[2:3], v[2:3], 0, s[10:11]
	global_load_dword v10, v[2:3], off
	global_load_dword v11, v[32:33], off offset:1040
	v_lshl_add_u64 v[2:3], v[2:3], 0, s[10:11]
	;; [unrolled: 3-line block ×9, first 2 shown]
	global_load_dword v26, v[2:3], off
	global_load_dword v27, v[0:1], off offset:2064
	v_add_u32_e32 v0, 0x100, v37
	v_add_u32_e32 v1, 0x600, v37
	;; [unrolled: 1-line block ×4, first 2 shown]
	s_waitcnt vmcnt(19)
	v_lshrrev_b32_e32 v28, 16, v8
	s_waitcnt vmcnt(18)
	v_mul_f16_sdwa v29, v9, v8 dst_sel:DWORD dst_unused:UNUSED_PAD src0_sel:WORD_1 src1_sel:DWORD
	v_mul_f16_sdwa v30, v9, v28 dst_sel:DWORD dst_unused:UNUSED_PAD src0_sel:WORD_1 src1_sel:DWORD
	v_fma_f16 v28, v9, v28, -v29
	s_waitcnt vmcnt(17)
	v_lshrrev_b32_e32 v29, 16, v10
	s_waitcnt vmcnt(16)
	v_mul_f16_sdwa v38, v11, v10 dst_sel:DWORD dst_unused:UNUSED_PAD src0_sel:WORD_1 src1_sel:DWORD
	v_fma_f16 v8, v9, v8, v30
	v_mul_f16_sdwa v9, v11, v29 dst_sel:DWORD dst_unused:UNUSED_PAD src0_sel:WORD_1 src1_sel:DWORD
	v_fma_f16 v29, v11, v29, -v38
	s_waitcnt vmcnt(15)
	v_lshrrev_b32_e32 v30, 16, v12
	s_waitcnt vmcnt(14)
	v_mul_f16_sdwa v38, v13, v12 dst_sel:DWORD dst_unused:UNUSED_PAD src0_sel:WORD_1 src1_sel:DWORD
	v_pack_b32_f16 v8, v8, v28
	v_fma_f16 v9, v11, v10, v9
	v_mul_f16_sdwa v10, v13, v30 dst_sel:DWORD dst_unused:UNUSED_PAD src0_sel:WORD_1 src1_sel:DWORD
	v_fma_f16 v11, v13, v30, -v38
	s_waitcnt vmcnt(13)
	v_lshrrev_b32_e32 v28, 16, v14
	s_waitcnt vmcnt(12)
	v_mul_f16_sdwa v30, v15, v14 dst_sel:DWORD dst_unused:UNUSED_PAD src0_sel:WORD_1 src1_sel:DWORD
	v_pack_b32_f16 v9, v9, v29
	v_fma_f16 v10, v13, v12, v10
	v_mul_f16_sdwa v12, v15, v28 dst_sel:DWORD dst_unused:UNUSED_PAD src0_sel:WORD_1 src1_sel:DWORD
	v_fma_f16 v13, v15, v28, -v30
	s_waitcnt vmcnt(11)
	v_lshrrev_b32_e32 v28, 16, v16
	s_waitcnt vmcnt(10)
	v_mul_f16_sdwa v29, v17, v16 dst_sel:DWORD dst_unused:UNUSED_PAD src0_sel:WORD_1 src1_sel:DWORD
	ds_write2_b32 v0, v8, v9 offset0:36 offset1:196
	v_pack_b32_f16 v0, v10, v11
	v_fma_f16 v8, v15, v14, v12
	v_mul_f16_sdwa v9, v17, v28 dst_sel:DWORD dst_unused:UNUSED_PAD src0_sel:WORD_1 src1_sel:DWORD
	s_waitcnt vmcnt(9)
	v_lshrrev_b32_e32 v11, 16, v18
	v_fma_f16 v10, v17, v28, -v29
	s_waitcnt vmcnt(8)
	v_mul_f16_sdwa v12, v19, v18 dst_sel:DWORD dst_unused:UNUSED_PAD src0_sel:WORD_1 src1_sel:DWORD
	v_pack_b32_f16 v8, v8, v13
	v_fma_f16 v9, v17, v16, v9
	v_mul_f16_sdwa v13, v19, v11 dst_sel:DWORD dst_unused:UNUSED_PAD src0_sel:WORD_1 src1_sel:DWORD
	v_fma_f16 v11, v19, v11, -v12
	s_waitcnt vmcnt(7)
	v_lshrrev_b32_e32 v12, 16, v20
	s_waitcnt vmcnt(6)
	v_mul_f16_sdwa v14, v21, v20 dst_sel:DWORD dst_unused:UNUSED_PAD src0_sel:WORD_1 src1_sel:DWORD
	ds_write2_b32 v1, v0, v8 offset0:36 offset1:196
	v_pack_b32_f16 v0, v9, v10
	v_fma_f16 v1, v19, v18, v13
	s_waitcnt vmcnt(5)
	v_lshrrev_b32_e32 v10, 16, v22
	v_mul_f16_sdwa v8, v21, v12 dst_sel:DWORD dst_unused:UNUSED_PAD src0_sel:WORD_1 src1_sel:DWORD
	v_fma_f16 v9, v21, v12, -v14
	s_waitcnt vmcnt(4)
	v_mul_f16_sdwa v12, v23, v22 dst_sel:DWORD dst_unused:UNUSED_PAD src0_sel:WORD_1 src1_sel:DWORD
	v_pack_b32_f16 v1, v1, v11
	v_mul_f16_sdwa v11, v23, v10 dst_sel:DWORD dst_unused:UNUSED_PAD src0_sel:WORD_1 src1_sel:DWORD
	v_fma_f16 v8, v21, v20, v8
	v_fma_f16 v10, v23, v10, -v12
	s_waitcnt vmcnt(3)
	v_lshrrev_b32_e32 v12, 16, v24
	ds_write2_b32 v2, v0, v1 offset0:36 offset1:196
	v_fma_f16 v1, v23, v22, v11
	s_waitcnt vmcnt(2)
	v_mul_f16_sdwa v13, v25, v24 dst_sel:DWORD dst_unused:UNUSED_PAD src0_sel:WORD_1 src1_sel:DWORD
	v_pack_b32_f16 v0, v8, v9
	v_mul_f16_sdwa v2, v25, v12 dst_sel:DWORD dst_unused:UNUSED_PAD src0_sel:WORD_1 src1_sel:DWORD
	v_pack_b32_f16 v1, v1, v10
	v_fma_f16 v2, v25, v24, v2
	ds_write2_b32 v3, v0, v1 offset0:36 offset1:196
	v_fma_f16 v0, v25, v12, -v13
	s_waitcnt vmcnt(1)
	v_lshrrev_b32_e32 v1, 16, v26
	v_pack_b32_f16 v0, v2, v0
	s_waitcnt vmcnt(0)
	v_mul_f16_sdwa v2, v27, v1 dst_sel:DWORD dst_unused:UNUSED_PAD src0_sel:WORD_1 src1_sel:DWORD
	v_mul_f16_sdwa v3, v27, v26 dst_sel:DWORD dst_unused:UNUSED_PAD src0_sel:WORD_1 src1_sel:DWORD
	v_fma_f16 v2, v27, v26, v2
	v_fma_f16 v1, v27, v1, -v3
	v_pack_b32_f16 v1, v2, v1
	v_add_u32_e32 v2, 0x1500, v37
	ds_write2_b32 v2, v0, v1 offset0:36 offset1:196
.LBB0_3:
	s_or_b64 exec, exec, s[14:15]
	s_waitcnt lgkmcnt(0)
	s_barrier
	ds_read2_b32 v[20:21], v37 offset1:160
	ds_read2_b32 v[18:19], v4 offset0:64 offset1:224
	ds_read2_b32 v[16:17], v5 offset1:160
	ds_read2_b32 v[14:15], v6 offset0:64 offset1:224
	ds_read2_b32 v[12:13], v7 offset1:160
	s_load_dwordx2 s[0:1], s[0:1], 0x8
                                        ; implicit-def: $vgpr7
                                        ; implicit-def: $vgpr5
                                        ; implicit-def: $vgpr3
                                        ; implicit-def: $vgpr11
                                        ; implicit-def: $vgpr9
	s_and_saveexec_b64 s[8:9], vcc
	s_cbranch_execz .LBB0_5
; %bb.4:
	v_add_u32_e32 v0, 0x100, v37
	ds_read2_b32 v[8:9], v0 offset0:36 offset1:196
	v_add_u32_e32 v0, 0x600, v37
	ds_read2_b32 v[10:11], v0 offset0:36 offset1:196
	v_add_u32_e32 v0, 0xb00, v37
	ds_read2_b32 v[2:3], v0 offset0:36 offset1:196
	v_add_u32_e32 v0, 0x1000, v37
	ds_read2_b32 v[4:5], v0 offset0:36 offset1:196
	v_add_u32_e32 v0, 0x1500, v37
	ds_read2_b32 v[6:7], v0 offset0:36 offset1:196
.LBB0_5:
	s_or_b64 exec, exec, s[8:9]
	s_mov_b64 s[8:9], 0x64
	v_lshl_add_u64 v[0:1], v[34:35], 0, s[8:9]
	s_waitcnt lgkmcnt(0)
	v_add_f16_e32 v1, v16, v14
	v_fma_f16 v1, v1, -0.5, v20
	v_sub_f16_sdwa v22, v18, v12 dst_sel:DWORD dst_unused:UNUSED_PAD src0_sel:WORD_1 src1_sel:WORD_1
	s_movk_i32 s8, 0x3b9c
	s_mov_b32 s11, 0xbb9c
	v_fma_f16 v23, v22, s8, v1
	v_sub_f16_sdwa v24, v16, v14 dst_sel:DWORD dst_unused:UNUSED_PAD src0_sel:WORD_1 src1_sel:WORD_1
	s_movk_i32 s9, 0x38b4
	v_sub_f16_e32 v25, v12, v14
	v_sub_f16_e32 v26, v18, v16
	v_fma_f16 v1, v22, s11, v1
	s_mov_b32 s14, 0xb8b4
	v_fma_f16 v23, v24, s9, v23
	v_add_f16_e32 v25, v26, v25
	s_movk_i32 s10, 0x34f2
	v_fma_f16 v1, v24, s14, v1
	v_fma_f16 v23, v25, s10, v23
	;; [unrolled: 1-line block ×3, first 2 shown]
	v_add_f16_e32 v25, v18, v12
	v_fma_f16 v25, v25, -0.5, v20
	v_fma_f16 v26, v24, s11, v25
	v_fma_f16 v24, v24, s8, v25
	v_pk_add_f16 v43, v20, v18
	v_fma_f16 v26, v22, s9, v26
	v_sub_f16_e32 v27, v14, v12
	v_sub_f16_e32 v28, v16, v18
	v_fma_f16 v22, v22, s14, v24
	v_add_f16_sdwa v24, v16, v14 dst_sel:DWORD dst_unused:UNUSED_PAD src0_sel:WORD_1 src1_sel:WORD_1
	v_lshrrev_b32_e32 v20, 16, v20
	v_add_f16_e32 v27, v28, v27
	v_fma_f16 v24, v24, -0.5, v20
	v_sub_f16_e32 v25, v18, v12
	v_fma_f16 v26, v27, s10, v26
	v_fma_f16 v22, v27, s10, v22
	;; [unrolled: 1-line block ×3, first 2 shown]
	v_sub_f16_e32 v28, v16, v14
	v_sub_f16_sdwa v29, v18, v16 dst_sel:DWORD dst_unused:UNUSED_PAD src0_sel:WORD_1 src1_sel:WORD_1
	v_sub_f16_sdwa v30, v12, v14 dst_sel:DWORD dst_unused:UNUSED_PAD src0_sel:WORD_1 src1_sel:WORD_1
	v_fma_f16 v24, v25, s8, v24
	v_fma_f16 v27, v28, s14, v27
	v_add_f16_e32 v29, v29, v30
	v_fma_f16 v24, v28, s9, v24
	v_fma_f16 v27, v29, s10, v27
	v_fma_f16 v24, v29, s10, v24
	v_add_f16_sdwa v29, v18, v12 dst_sel:DWORD dst_unused:UNUSED_PAD src0_sel:WORD_1 src1_sel:WORD_1
	v_fma_f16 v20, v29, -0.5, v20
	v_fma_f16 v29, v28, s8, v20
	v_sub_f16_sdwa v18, v16, v18 dst_sel:DWORD dst_unused:UNUSED_PAD src0_sel:WORD_1 src1_sel:WORD_1
	v_sub_f16_sdwa v30, v14, v12 dst_sel:DWORD dst_unused:UNUSED_PAD src0_sel:WORD_1 src1_sel:WORD_1
	v_fma_f16 v20, v28, s11, v20
	v_fma_f16 v29, v25, s14, v29
	v_add_f16_e32 v18, v18, v30
	v_fma_f16 v20, v25, s9, v20
	v_fma_f16 v29, v18, s10, v29
	;; [unrolled: 1-line block ×3, first 2 shown]
	v_add_f16_e32 v20, v17, v15
	v_fma_f16 v20, v20, -0.5, v21
	v_sub_f16_sdwa v25, v19, v13 dst_sel:DWORD dst_unused:UNUSED_PAD src0_sel:WORD_1 src1_sel:WORD_1
	v_fma_f16 v28, v25, s8, v20
	v_sub_f16_sdwa v30, v17, v15 dst_sel:DWORD dst_unused:UNUSED_PAD src0_sel:WORD_1 src1_sel:WORD_1
	v_sub_f16_e32 v35, v13, v15
	v_sub_f16_e32 v38, v19, v17
	v_fma_f16 v20, v25, s11, v20
	v_fma_f16 v28, v30, s9, v28
	v_add_f16_e32 v35, v38, v35
	v_fma_f16 v20, v30, s14, v20
	v_fma_f16 v28, v35, s10, v28
	;; [unrolled: 1-line block ×3, first 2 shown]
	v_add_f16_e32 v35, v19, v13
	v_fma_f16 v35, v35, -0.5, v21
	v_fma_f16 v38, v30, s11, v35
	v_fma_f16 v30, v30, s8, v35
	v_pk_add_f16 v44, v21, v19
	v_fma_f16 v38, v25, s9, v38
	v_sub_f16_e32 v39, v15, v13
	v_sub_f16_e32 v40, v17, v19
	v_fma_f16 v25, v25, s14, v30
	v_add_f16_sdwa v30, v17, v15 dst_sel:DWORD dst_unused:UNUSED_PAD src0_sel:WORD_1 src1_sel:WORD_1
	v_lshrrev_b32_e32 v21, 16, v21
	v_add_f16_e32 v39, v40, v39
	v_fma_f16 v30, v30, -0.5, v21
	v_sub_f16_e32 v35, v19, v13
	v_fma_f16 v38, v39, s10, v38
	v_fma_f16 v25, v39, s10, v25
	;; [unrolled: 1-line block ×3, first 2 shown]
	v_sub_f16_e32 v40, v17, v15
	v_sub_f16_sdwa v41, v19, v17 dst_sel:DWORD dst_unused:UNUSED_PAD src0_sel:WORD_1 src1_sel:WORD_1
	v_sub_f16_sdwa v42, v13, v15 dst_sel:DWORD dst_unused:UNUSED_PAD src0_sel:WORD_1 src1_sel:WORD_1
	v_fma_f16 v30, v35, s8, v30
	v_fma_f16 v39, v40, s14, v39
	v_add_f16_e32 v41, v41, v42
	v_fma_f16 v30, v40, s9, v30
	v_fma_f16 v39, v41, s10, v39
	;; [unrolled: 1-line block ×3, first 2 shown]
	v_add_f16_sdwa v41, v19, v13 dst_sel:DWORD dst_unused:UNUSED_PAD src0_sel:WORD_1 src1_sel:WORD_1
	v_fma_f16 v21, v41, -0.5, v21
	v_fma_f16 v41, v40, s8, v21
	v_sub_f16_sdwa v19, v17, v19 dst_sel:DWORD dst_unused:UNUSED_PAD src0_sel:WORD_1 src1_sel:WORD_1
	v_sub_f16_sdwa v42, v15, v13 dst_sel:DWORD dst_unused:UNUSED_PAD src0_sel:WORD_1 src1_sel:WORD_1
	v_fma_f16 v21, v40, s11, v21
	v_fma_f16 v41, v35, s14, v41
	v_add_f16_e32 v19, v19, v42
	v_fma_f16 v21, v35, s9, v21
	v_fma_f16 v41, v19, s10, v41
	;; [unrolled: 1-line block ×3, first 2 shown]
	v_mul_f16_e32 v40, 0x34f2, v25
	v_fma_f16 v40, v19, s8, -v40
	v_mul_f16_e32 v42, 0x3a79, v20
	v_mul_f16_e32 v19, 0x34f2, v19
	v_fma_f16 v42, v30, s9, -v42
	v_fma_f16 v19, v25, s11, -v19
	v_mul_f16_e32 v25, 0x3a79, v30
	v_mul_f16_e32 v21, 0x3a79, v28
	v_add_f16_e32 v48, v1, v42
	v_fma_f16 v20, v20, s14, -v25
	v_sub_f16_e32 v56, v1, v42
	v_add_f16_e32 v1, v4, v2
	v_fma_f16 v21, v39, s9, v21
	v_add_f16_e32 v51, v18, v19
	v_add_f16_e32 v52, v24, v20
	v_sub_f16_e32 v72, v18, v19
	v_sub_f16_e32 v73, v24, v20
	v_fma_f16 v18, v1, -0.5, v8
	v_sub_f16_sdwa v20, v10, v6 dst_sel:DWORD dst_unused:UNUSED_PAD src0_sel:WORD_1 src1_sel:WORD_1
	v_add_f16_e32 v45, v23, v21
	v_add_f16_e32 v47, v22, v40
	v_sub_f16_e32 v53, v23, v21
	v_sub_f16_e32 v55, v22, v40
	v_fma_f16 v1, v20, s8, v18
	v_sub_f16_sdwa v21, v2, v4 dst_sel:DWORD dst_unused:UNUSED_PAD src0_sel:WORD_1 src1_sel:WORD_1
	v_sub_f16_e32 v19, v10, v2
	v_sub_f16_e32 v22, v6, v4
	v_fma_f16 v18, v20, s11, v18
	v_fma_f16 v1, v21, s9, v1
	v_add_f16_e32 v19, v22, v19
	v_fma_f16 v18, v21, s14, v18
	v_fma_f16 v1, v19, s10, v1
	;; [unrolled: 1-line block ×3, first 2 shown]
	v_add_f16_e32 v19, v6, v10
	v_fma_f16 v22, v19, -0.5, v8
	v_fma_f16 v19, v21, s11, v22
	v_sub_f16_e32 v23, v2, v10
	v_sub_f16_e32 v24, v4, v6
	v_fma_f16 v21, v21, s8, v22
	v_fma_f16 v19, v20, s9, v19
	v_add_f16_e32 v23, v24, v23
	v_fma_f16 v20, v20, s14, v21
	s_movk_i32 s15, 0x3a79
	v_mul_f16_e32 v35, 0x3b9c, v41
	v_mul_f16_e32 v28, 0xb8b4, v28
	v_fma_f16 v19, v23, s10, v19
	v_fma_f16 v20, v23, s10, v20
	v_add_f16_sdwa v21, v4, v2 dst_sel:DWORD dst_unused:UNUSED_PAD src0_sel:WORD_1 src1_sel:WORD_1
	v_lshrrev_b32_e32 v23, 16, v8
	v_fma_f16 v35, v38, s10, v35
	v_fma_f16 v28, v39, s15, v28
	v_fma_f16 v22, v21, -0.5, v23
	v_sub_f16_e32 v24, v10, v6
	v_add_f16_e32 v46, v26, v35
	v_add_f16_e32 v49, v27, v28
	v_sub_f16_e32 v54, v26, v35
	v_sub_f16_e32 v57, v27, v28
	v_fma_f16 v21, v24, s11, v22
	v_sub_f16_e32 v25, v2, v4
	v_sub_f16_sdwa v26, v10, v2 dst_sel:DWORD dst_unused:UNUSED_PAD src0_sel:WORD_1 src1_sel:WORD_1
	v_sub_f16_sdwa v27, v6, v4 dst_sel:DWORD dst_unused:UNUSED_PAD src0_sel:WORD_1 src1_sel:WORD_1
	v_fma_f16 v22, v24, s8, v22
	v_fma_f16 v21, v25, s14, v21
	v_add_f16_e32 v26, v27, v26
	v_fma_f16 v22, v25, s9, v22
	v_fma_f16 v21, v26, s10, v21
	;; [unrolled: 1-line block ×3, first 2 shown]
	v_add_f16_sdwa v26, v6, v10 dst_sel:DWORD dst_unused:UNUSED_PAD src0_sel:WORD_1 src1_sel:WORD_1
	v_fma_f16 v26, v26, -0.5, v23
	v_fma_f16 v23, v25, s8, v26
	v_fma_f16 v25, v25, s11, v26
	v_mul_f16_e32 v38, 0xbb9c, v38
	v_fma_f16 v23, v24, s14, v23
	v_sub_f16_sdwa v27, v2, v10 dst_sel:DWORD dst_unused:UNUSED_PAD src0_sel:WORD_1 src1_sel:WORD_1
	v_sub_f16_sdwa v28, v4, v6 dst_sel:DWORD dst_unused:UNUSED_PAD src0_sel:WORD_1 src1_sel:WORD_1
	v_fma_f16 v24, v24, s9, v25
	v_add_f16_e32 v25, v5, v3
	v_fma_f16 v38, v41, s10, v38
	v_add_f16_e32 v27, v28, v27
	v_fma_f16 v25, v25, -0.5, v9
	v_sub_f16_sdwa v26, v11, v7 dst_sel:DWORD dst_unused:UNUSED_PAD src0_sel:WORD_1 src1_sel:WORD_1
	v_add_f16_e32 v50, v29, v38
	v_sub_f16_e32 v70, v29, v38
	v_fma_f16 v23, v27, s10, v23
	v_fma_f16 v24, v27, s10, v24
	;; [unrolled: 1-line block ×3, first 2 shown]
	v_sub_f16_sdwa v28, v3, v5 dst_sel:DWORD dst_unused:UNUSED_PAD src0_sel:WORD_1 src1_sel:WORD_1
	v_sub_f16_e32 v29, v11, v3
	v_sub_f16_e32 v30, v7, v5
	v_fma_f16 v25, v26, s11, v25
	v_add_f16_e32 v29, v30, v29
	v_fma_f16 v25, v28, s14, v25
	v_fma_f16 v38, v29, s10, v25
	v_add_f16_e32 v25, v7, v11
	v_fma_f16 v27, v28, s9, v27
	v_fma_f16 v25, v25, -0.5, v9
	v_fma_f16 v30, v29, s10, v27
	v_fma_f16 v27, v28, s11, v25
	v_sub_f16_e32 v29, v3, v11
	v_sub_f16_e32 v35, v5, v7
	v_fma_f16 v25, v28, s8, v25
	v_add_f16_e32 v29, v35, v29
	v_fma_f16 v25, v26, s14, v25
	v_fma_f16 v27, v26, s9, v27
	;; [unrolled: 1-line block ×3, first 2 shown]
	v_add_f16_sdwa v25, v5, v3 dst_sel:DWORD dst_unused:UNUSED_PAD src0_sel:WORD_1 src1_sel:WORD_1
	v_lshrrev_b32_e32 v26, 16, v9
	v_fma_f16 v35, v29, s10, v27
	v_fma_f16 v25, v25, -0.5, v26
	v_sub_f16_e32 v27, v11, v7
	v_fma_f16 v28, v27, s11, v25
	v_sub_f16_e32 v29, v3, v5
	v_sub_f16_sdwa v40, v11, v3 dst_sel:DWORD dst_unused:UNUSED_PAD src0_sel:WORD_1 src1_sel:WORD_1
	v_sub_f16_sdwa v41, v7, v5 dst_sel:DWORD dst_unused:UNUSED_PAD src0_sel:WORD_1 src1_sel:WORD_1
	v_fma_f16 v25, v27, s8, v25
	v_fma_f16 v28, v29, s14, v28
	v_add_f16_e32 v40, v41, v40
	v_fma_f16 v25, v29, s9, v25
	v_fma_f16 v41, v40, s10, v28
	;; [unrolled: 1-line block ×3, first 2 shown]
	v_add_f16_sdwa v25, v7, v11 dst_sel:DWORD dst_unused:UNUSED_PAD src0_sel:WORD_1 src1_sel:WORD_1
	v_fma_f16 v25, v25, -0.5, v26
	v_fma_f16 v26, v29, s8, v25
	v_sub_f16_sdwa v28, v3, v11 dst_sel:DWORD dst_unused:UNUSED_PAD src0_sel:WORD_1 src1_sel:WORD_1
	v_sub_f16_sdwa v42, v5, v7 dst_sel:DWORD dst_unused:UNUSED_PAD src0_sel:WORD_1 src1_sel:WORD_1
	v_fma_f16 v26, v27, s14, v26
	v_add_f16_e32 v28, v42, v28
	v_fma_f16 v25, v29, s11, v25
	v_fma_f16 v42, v28, s10, v26
	;; [unrolled: 1-line block ×3, first 2 shown]
	v_pk_add_f16 v16, v43, v16
	v_pk_add_f16 v17, v44, v17
	v_fma_f16 v71, v28, s10, v25
	v_mul_f16_e32 v25, 0x38b4, v41
	v_mul_f16_e32 v26, 0x3b9c, v42
	;; [unrolled: 1-line block ×3, first 2 shown]
	v_pk_add_f16 v14, v16, v14
	v_pk_add_f16 v15, v17, v15
	v_mul_lo_u16_e32 v16, 10, v34
	v_fma_f16 v25, v30, s15, v25
	v_fma_f16 v26, v35, s10, v26
	v_fma_f16 v27, v71, s8, -v27
	v_mul_f16_e32 v29, 0xb8b4, v30
	v_mul_f16_e32 v30, 0xbb9c, v35
	;; [unrolled: 1-line block ×3, first 2 shown]
	v_lshl_add_u32 v71, v16, 2, v31
	v_pk_add_f16 v16, v14, v12
	v_pk_add_f16 v17, v15, v13
	v_mul_f16_e32 v28, 0x3a79, v38
	v_fma_f16 v35, v39, s11, -v35
	v_mul_f16_e32 v39, 0x3a79, v40
	v_pk_add_f16 v12, v16, v17
	v_pack_b32_f16 v13, v45, v49
	v_pack_b32_f16 v15, v47, v51
	v_pack_b32_f16 v14, v46, v50
	v_fma_f16 v28, v40, s9, -v28
	v_fma_f16 v29, v41, s15, v29
	v_fma_f16 v30, v42, s10, v30
	v_fma_f16 v42, v38, s14, -v39
	s_barrier
	ds_write2_b64 v71, v[12:13], v[14:15] offset1:1
	v_pk_add_f16 v13, v16, v17 neg_lo:[0,1] neg_hi:[0,1]
	v_pack_b32_f16 v14, v53, v57
	v_pack_b32_f16 v15, v54, v70
	;; [unrolled: 1-line block ×3, first 2 shown]
	v_sub_f16_e32 v38, v1, v25
	v_sub_f16_e32 v39, v19, v26
	;; [unrolled: 1-line block ×8, first 2 shown]
	ds_write2_b64 v71, v[12:13], v[14:15] offset0:2 offset1:3
	v_pack_b32_f16 v13, v56, v73
	v_pack_b32_f16 v12, v55, v72
	v_mul_u32_u24_e32 v70, 10, v0
	ds_write_b64 v71, v[12:13] offset:32
	s_and_saveexec_b64 s[8:9], vcc
	s_cbranch_execz .LBB0_7
; %bb.6:
	v_pk_add_f16 v8, v10, v8
	v_pk_add_f16 v9, v11, v9
	v_pk_add_f16 v2, v2, v8
	v_add_f16_e32 v11, v24, v35
	v_pk_add_f16 v2, v4, v2
	v_add_f16_e32 v12, v23, v30
	v_pk_add_f16 v6, v6, v2
	v_pk_add_f16 v2, v3, v9
	v_add_f16_e32 v13, v21, v29
	v_pk_add_f16 v2, v5, v2
	v_add_f16_e32 v15, v20, v27
	v_add_f16_e32 v16, v19, v26
	;; [unrolled: 1-line block ×3, first 2 shown]
	v_pk_add_f16 v7, v7, v2
	v_add_f16_e32 v10, v22, v42
	v_add_f16_e32 v14, v18, v28
	v_lshl_add_u32 v17, v70, 2, v31
	v_pk_add_f16 v2, v7, v6
	v_pack_b32_f16 v5, v15, v11
	v_pack_b32_f16 v4, v16, v12
	;; [unrolled: 1-line block ×3, first 2 shown]
	s_mov_b32 s10, 0x5040100
	ds_write2_b64 v17, v[2:3], v[4:5] offset1:1
	v_pk_add_f16 v3, v6, v7 neg_lo:[0,1] neg_hi:[0,1]
	v_perm_b32 v5, v77, v39, s10
	v_perm_b32 v4, v75, v38, s10
	v_pack_b32_f16 v2, v14, v10
	ds_write2_b64 v17, v[2:3], v[4:5] offset0:2 offset1:3
	v_perm_b32 v3, v78, v41, s10
	v_perm_b32 v2, v76, v40, s10
	ds_write_b64 v17, v[2:3] offset:32
.LBB0_7:
	s_or_b64 exec, exec, s[8:9]
	s_movk_i32 s8, 0xcd
	v_mul_lo_u16_sdwa v1, v34, s8 dst_sel:DWORD dst_unused:UNUSED_PAD src0_sel:BYTE_0 src1_sel:DWORD
	v_lshrrev_b16_e32 v1, 11, v1
	v_mul_lo_u16_e32 v2, 10, v1
	v_sub_u16_e32 v2, v34, v2
	v_and_b32_e32 v35, 0xff, v2
	v_mad_u64_u32 v[2:3], s[8:9], v35, 60, s[0:1]
	s_waitcnt lgkmcnt(0)
	s_barrier
	global_load_dwordx4 v[8:11], v[2:3], off
	global_load_dwordx4 v[12:15], v[2:3], off offset:16
	global_load_dwordx4 v[16:19], v[2:3], off offset:32
	global_load_dwordx3 v[28:30], v[2:3], off offset:48
	ds_read2_b32 v[2:3], v37 offset1:100
	v_add_u32_e32 v4, 0x200, v37
	v_add_u32_e32 v20, 0x800, v37
	;; [unrolled: 1-line block ×7, first 2 shown]
	ds_read2_b32 v[4:5], v4 offset0:72 offset1:172
	ds_read2_b32 v[6:7], v81 offset0:144 offset1:244
	;; [unrolled: 1-line block ×7, first 2 shown]
	s_waitcnt lgkmcnt(7)
	v_lshrrev_b32_e32 v45, 16, v3
	s_waitcnt lgkmcnt(6)
	v_lshrrev_b32_e32 v46, 16, v4
	;; [unrolled: 2-line block ×4, first 2 shown]
	v_lshrrev_b32_e32 v57, 16, v27
	s_waitcnt lgkmcnt(0)
	v_lshrrev_b32_e32 v72, 16, v42
	v_lshrrev_b32_e32 v54, 16, v24
	;; [unrolled: 1-line block ×11, first 2 shown]
	s_mov_b32 s8, 0xb9a8
	s_movk_i32 s9, 0x39a8
	s_mov_b32 s10, 0xbb64
	s_movk_i32 s14, 0x361f
	;; [unrolled: 2-line block ×3, first 2 shown]
	v_mul_u32_u24_e32 v1, 0xa0, v1
	v_or_b32_e32 v1, v1, v35
	s_barrier
	s_waitcnt vmcnt(3)
	v_mul_f16_sdwa v82, v45, v8 dst_sel:DWORD dst_unused:UNUSED_PAD src0_sel:DWORD src1_sel:WORD_1
	v_mul_f16_sdwa v83, v3, v8 dst_sel:DWORD dst_unused:UNUSED_PAD src0_sel:DWORD src1_sel:WORD_1
	v_fma_f16 v3, v3, v8, -v82
	s_waitcnt vmcnt(1)
	v_mul_f16_sdwa v82, v56, v19 dst_sel:DWORD dst_unused:UNUSED_PAD src0_sel:DWORD src1_sel:WORD_1
	v_fma_f16 v82, v26, v19, -v82
	v_mul_f16_sdwa v26, v26, v19 dst_sel:DWORD dst_unused:UNUSED_PAD src0_sel:DWORD src1_sel:WORD_1
	v_fma_f16 v26, v56, v19, v26
	s_waitcnt vmcnt(0)
	v_mul_f16_sdwa v56, v57, v28 dst_sel:DWORD dst_unused:UNUSED_PAD src0_sel:DWORD src1_sel:WORD_1
	v_fma_f16 v56, v27, v28, -v56
	v_mul_f16_sdwa v27, v27, v28 dst_sel:DWORD dst_unused:UNUSED_PAD src0_sel:DWORD src1_sel:WORD_1
	v_fma_f16 v27, v57, v28, v27
	v_mul_f16_sdwa v57, v72, v29 dst_sel:DWORD dst_unused:UNUSED_PAD src0_sel:DWORD src1_sel:WORD_1
	v_fma_f16 v57, v42, v29, -v57
	v_mul_f16_sdwa v42, v42, v29 dst_sel:DWORD dst_unused:UNUSED_PAD src0_sel:DWORD src1_sel:WORD_1
	v_mul_f16_sdwa v84, v46, v9 dst_sel:DWORD dst_unused:UNUSED_PAD src0_sel:DWORD src1_sel:WORD_1
	;; [unrolled: 1-line block ×6, first 2 shown]
	v_fma_f16 v42, v72, v29, v42
	v_mul_f16_sdwa v72, v73, v30 dst_sel:DWORD dst_unused:UNUSED_PAD src0_sel:DWORD src1_sel:WORD_1
	v_mul_f16_sdwa v85, v4, v9 dst_sel:DWORD dst_unused:UNUSED_PAD src0_sel:DWORD src1_sel:WORD_1
	;; [unrolled: 1-line block ×11, first 2 shown]
	v_fma_f16 v4, v4, v9, -v84
	v_fma_f16 v48, v48, v11, v89
	v_fma_f16 v50, v50, v13, v93
	v_fma_f16 v22, v22, v15, -v96
	v_fma_f16 v24, v24, v17, -v100
	;; [unrolled: 1-line block ×3, first 2 shown]
	v_mul_f16_sdwa v43, v43, v30 dst_sel:DWORD dst_unused:UNUSED_PAD src0_sel:DWORD src1_sel:WORD_1
	v_mul_f16_sdwa v86, v47, v10 dst_sel:DWORD dst_unused:UNUSED_PAD src0_sel:DWORD src1_sel:WORD_1
	;; [unrolled: 1-line block ×6, first 2 shown]
	v_fma_f16 v45, v45, v8, v83
	v_fma_f16 v46, v46, v9, v85
	v_fma_f16 v47, v47, v10, v87
	v_fma_f16 v6, v6, v11, -v88
	v_fma_f16 v49, v49, v12, v91
	v_fma_f16 v20, v20, v13, -v92
	v_fma_f16 v51, v51, v14, v95
	v_fma_f16 v52, v52, v15, v97
	;; [unrolled: 1-line block ×6, first 2 shown]
	v_sub_f16_e32 v22, v2, v22
	v_sub_f16_e32 v26, v48, v26
	;; [unrolled: 1-line block ×4, first 2 shown]
	v_fma_f16 v7, v7, v12, -v90
	v_fma_f16 v21, v21, v14, -v94
	v_sub_f16_e32 v52, v44, v52
	v_sub_f16_e32 v73, v6, v82
	v_fma_f16 v48, v48, 2.0, -v26
	v_sub_f16_e32 v54, v46, v54
	v_sub_f16_e32 v57, v20, v57
	v_fma_f16 v50, v50, 2.0, -v42
	v_sub_f16_e32 v53, v45, v53
	v_sub_f16_e32 v27, v49, v27
	;; [unrolled: 1-line block ×6, first 2 shown]
	v_fma_f16 v5, v5, v10, -v86
	v_fma_f16 v23, v23, v16, -v98
	v_fma_f16 v25, v25, v18, -v102
	v_fma_f16 v2, v2, 2.0, -v22
	v_fma_f16 v6, v6, 2.0, -v73
	;; [unrolled: 1-line block ×5, first 2 shown]
	v_sub_f16_e32 v56, v7, v56
	v_fma_f16 v49, v49, 2.0, -v27
	v_fma_f16 v47, v47, 2.0, -v55
	v_sub_f16_e32 v72, v21, v72
	v_fma_f16 v51, v51, 2.0, -v43
	v_add_f16_e32 v73, v52, v73
	v_fma_f16 v22, v22, 2.0, -v26
	v_add_f16_e32 v57, v54, v57
	v_fma_f16 v24, v24, 2.0, -v42
	v_fma_f16 v44, v44, 2.0, -v52
	;; [unrolled: 1-line block ×3, first 2 shown]
	v_sub_f16_e32 v23, v3, v23
	v_fma_f16 v7, v7, 2.0, -v56
	v_sub_f16_e32 v25, v5, v25
	v_fma_f16 v21, v21, 2.0, -v72
	v_fma_f16 v52, v52, 2.0, -v73
	;; [unrolled: 1-line block ×3, first 2 shown]
	v_sub_f16_e32 v49, v45, v49
	v_add_f16_e32 v56, v53, v56
	v_sub_f16_e32 v51, v47, v51
	v_add_f16_e32 v72, v55, v72
	v_fma_f16 v82, v24, s8, v22
	v_fma_f16 v45, v45, 2.0, -v49
	v_sub_f16_e32 v27, v23, v27
	v_fma_f16 v53, v53, 2.0, -v56
	v_fma_f16 v47, v47, 2.0, -v51
	v_sub_f16_e32 v43, v25, v43
	v_fma_f16 v55, v55, 2.0, -v72
	v_fma_f16 v83, v54, s8, v52
	v_fma_f16 v54, v54, s8, v82
	v_fma_f16 v82, v42, s9, v26
	v_fma_f16 v3, v3, 2.0, -v23
	v_fma_f16 v5, v5, 2.0, -v25
	v_sub_f16_e32 v48, v44, v48
	v_sub_f16_e32 v50, v46, v50
	v_fma_f16 v23, v23, 2.0, -v27
	v_fma_f16 v25, v25, 2.0, -v43
	v_fma_f16 v24, v24, s9, v83
	v_fma_f16 v83, v57, s9, v73
	;; [unrolled: 1-line block ×3, first 2 shown]
	v_sub_f16_e32 v47, v45, v47
	v_fma_f16 v82, v55, s8, v53
	v_fma_f16 v44, v44, 2.0, -v48
	v_fma_f16 v46, v46, 2.0, -v50
	v_fma_f16 v88, v42, s9, v83
	v_fma_f16 v42, v45, 2.0, -v47
	v_fma_f16 v45, v25, s8, v23
	v_fma_f16 v25, v25, s9, v82
	v_sub_f16_e32 v7, v3, v7
	v_sub_f16_e32 v21, v5, v21
	;; [unrolled: 1-line block ×3, first 2 shown]
	v_fma_f16 v55, v55, s8, v45
	v_fma_f16 v45, v53, 2.0, -v25
	v_fma_f16 v53, v43, s9, v27
	v_fma_f16 v82, v72, s9, v56
	v_sub_f16_e32 v6, v2, v6
	v_sub_f16_e32 v20, v4, v20
	v_fma_f16 v3, v3, 2.0, -v7
	v_fma_f16 v5, v5, 2.0, -v21
	;; [unrolled: 1-line block ×3, first 2 shown]
	v_fma_f16 v53, v72, s8, v53
	v_fma_f16 v72, v43, s9, v82
	v_fma_f16 v2, v2, 2.0, -v6
	v_fma_f16 v4, v4, 2.0, -v20
	;; [unrolled: 1-line block ×3, first 2 shown]
	v_add_f16_e32 v20, v48, v20
	v_sub_f16_e32 v5, v3, v5
	v_add_f16_e32 v21, v49, v21
	v_fma_f16 v43, v56, 2.0, -v72
	v_sub_f16_e32 v56, v44, v42
	v_sub_f16_e32 v4, v2, v4
	v_fma_f16 v22, v22, 2.0, -v54
	v_sub_f16_e32 v50, v6, v50
	v_fma_f16 v48, v48, 2.0, -v20
	v_fma_f16 v23, v23, 2.0, -v55
	v_sub_f16_e32 v51, v7, v51
	v_fma_f16 v49, v49, 2.0, -v21
	v_fma_f16 v89, v44, 2.0, -v56
	v_fma_f16 v44, v45, s10, v52
	v_add_f16_e32 v84, v46, v5
	v_fma_f16 v2, v2, 2.0, -v4
	v_fma_f16 v6, v6, 2.0, -v50
	;; [unrolled: 1-line block ×7, first 2 shown]
	v_fma_f16 v42, v23, s10, v22
	v_fma_f16 v23, v23, s14, v44
	;; [unrolled: 1-line block ×3, first 2 shown]
	v_fma_f16 v5, v46, 2.0, -v84
	v_fma_f16 v46, v25, s14, v24
	v_sub_f16_e32 v3, v2, v3
	v_fma_f16 v90, v45, s11, v42
	v_fma_f16 v42, v7, s8, v6
	;; [unrolled: 1-line block ×7, first 2 shown]
	v_fma_f16 v2, v2, 2.0, -v3
	v_fma_f16 v22, v22, 2.0, -v90
	;; [unrolled: 1-line block ×3, first 2 shown]
	v_fma_f16 v42, v49, s8, v42
	v_fma_f16 v7, v48, 2.0, -v82
	v_fma_f16 v43, v43, s10, v44
	v_fma_f16 v83, v27, s15, v45
	v_sub_f16_e32 v44, v4, v47
	v_fma_f16 v45, v55, s14, v54
	v_fma_f16 v47, v21, s9, v20
	;; [unrolled: 1-line block ×4, first 2 shown]
	v_fma_f16 v6, v6, 2.0, -v42
	v_fma_f16 v26, v26, 2.0, -v43
	;; [unrolled: 1-line block ×3, first 2 shown]
	v_fma_f16 v45, v25, s10, v45
	v_fma_f16 v86, v51, s9, v47
	;; [unrolled: 1-line block ×4, first 2 shown]
	v_lshl_add_u32 v72, v1, 2, v31
	v_pack_b32_f16 v1, v2, v89
	v_pack_b32_f16 v2, v22, v52
	v_fma_f16 v4, v4, 2.0, -v44
	v_fma_f16 v25, v54, 2.0, -v45
	;; [unrolled: 1-line block ×3, first 2 shown]
	v_fma_f16 v87, v53, s14, v47
	ds_write2_b32 v72, v1, v2 offset1:10
	v_pack_b32_f16 v1, v6, v7
	v_pack_b32_f16 v2, v26, v27
	v_fma_f16 v21, v50, 2.0, -v48
	v_fma_f16 v20, v20, 2.0, -v86
	;; [unrolled: 1-line block ×4, first 2 shown]
	ds_write2_b32 v72, v1, v2 offset0:20 offset1:30
	v_pack_b32_f16 v1, v4, v5
	v_pack_b32_f16 v2, v25, v24
	ds_write2_b32 v72, v1, v2 offset0:40 offset1:50
	v_pack_b32_f16 v1, v21, v20
	v_pack_b32_f16 v2, v46, v47
	;; [unrolled: 3-line block ×6, first 2 shown]
	v_add_u32_e32 v88, 0xa00, v37
	ds_write2_b32 v72, v1, v2 offset0:140 offset1:150
	s_waitcnt lgkmcnt(0)
	s_barrier
	ds_read2_b32 v[46:47], v37 offset1:160
	ds_read2_b32 v[54:55], v81 offset0:64 offset1:224
	ds_read2_b32 v[56:57], v88 offset1:160
	ds_read2_b32 v[52:53], v80 offset0:64 offset1:224
	ds_read2_b32 v[50:51], v79 offset1:160
	s_and_saveexec_b64 s[8:9], vcc
	s_cbranch_execz .LBB0_9
; %bb.8:
	v_add_u32_e32 v1, 0x100, v37
	ds_read2_b32 v[42:43], v1 offset0:36 offset1:196
	v_add_u32_e32 v1, 0x600, v37
	ds_read2_b32 v[44:45], v1 offset0:36 offset1:196
	;; [unrolled: 2-line block ×5, first 2 shown]
	s_waitcnt lgkmcnt(4)
	v_lshrrev_b32_e32 v82, 16, v42
	v_lshrrev_b32_e32 v83, 16, v43
	s_waitcnt lgkmcnt(3)
	v_lshrrev_b32_e32 v84, 16, v44
	v_lshrrev_b32_e32 v85, 16, v45
	;; [unrolled: 3-line block ×5, first 2 shown]
.LBB0_9:
	s_or_b64 exec, exec, s[8:9]
	v_subrev_u32_e32 v1, 60, v34
	v_mad_u64_u32 v[2:3], s[8:9], v34, 36, s[0:1]
	v_cndmask_b32_e32 v0, v1, v0, vcc
	global_load_dwordx4 v[20:23], v[2:3], off offset:600
	global_load_dwordx4 v[24:27], v[2:3], off offset:616
	global_load_dword v73, v[2:3], off offset:632
	v_mul_hi_i32_i24_e32 v1, 36, v0
	v_mul_i32_i24_e32 v0, 36, v0
	v_lshl_add_u64 v[90:91], s[0:1], 0, v[0:1]
	global_load_dwordx4 v[0:3], v[90:91], off offset:600
	global_load_dwordx4 v[4:7], v[90:91], off offset:616
	global_load_dword v35, v[90:91], off offset:632
	s_waitcnt lgkmcnt(4)
	v_lshrrev_b32_e32 v90, 16, v47
	s_waitcnt lgkmcnt(2)
	v_lshrrev_b32_e32 v93, 16, v56
	;; [unrolled: 2-line block ×3, first 2 shown]
	v_lshrrev_b32_e32 v91, 16, v54
	v_lshrrev_b32_e32 v92, 16, v55
	s_waitcnt lgkmcnt(0)
	v_lshrrev_b32_e32 v97, 16, v50
	s_movk_i32 s9, 0x3b9c
	s_mov_b32 s1, 0xbb9c
	s_movk_i32 s10, 0x38b4
	s_mov_b32 s0, 0xb8b4
	s_movk_i32 s8, 0x34f2
	v_lshrrev_b32_e32 v89, 16, v46
	v_lshrrev_b32_e32 v94, 16, v57
	;; [unrolled: 1-line block ×4, first 2 shown]
	s_movk_i32 s11, 0x3a79
	s_waitcnt vmcnt(5)
	v_mul_f16_sdwa v99, v90, v20 dst_sel:DWORD dst_unused:UNUSED_PAD src0_sel:DWORD src1_sel:WORD_1
	v_mul_f16_sdwa v100, v47, v20 dst_sel:DWORD dst_unused:UNUSED_PAD src0_sel:DWORD src1_sel:WORD_1
	v_mul_f16_sdwa v105, v93, v23 dst_sel:DWORD dst_unused:UNUSED_PAD src0_sel:DWORD src1_sel:WORD_1
	s_waitcnt vmcnt(4)
	v_mul_f16_sdwa v109, v95, v25 dst_sel:DWORD dst_unused:UNUSED_PAD src0_sel:DWORD src1_sel:WORD_1
	v_mul_f16_sdwa v101, v91, v21 dst_sel:DWORD dst_unused:UNUSED_PAD src0_sel:DWORD src1_sel:WORD_1
	;; [unrolled: 1-line block ×6, first 2 shown]
	v_fma_f16 v47, v47, v20, -v99
	v_fma_f16 v90, v90, v20, v100
	v_fma_f16 v56, v56, v23, -v105
	v_fma_f16 v52, v52, v25, -v109
	s_waitcnt vmcnt(2)
	v_mul_f16_sdwa v99, v83, v0 dst_sel:DWORD dst_unused:UNUSED_PAD src0_sel:DWORD src1_sel:WORD_1
	v_mul_f16_sdwa v100, v43, v0 dst_sel:DWORD dst_unused:UNUSED_PAD src0_sel:DWORD src1_sel:WORD_1
	;; [unrolled: 1-line block ×5, first 2 shown]
	v_fma_f16 v54, v54, v21, -v101
	v_fma_f16 v91, v91, v21, v102
	v_fma_f16 v97, v97, v27, v114
	v_mul_f16_sdwa v101, v84, v1 dst_sel:DWORD dst_unused:UNUSED_PAD src0_sel:DWORD src1_sel:WORD_1
	v_fma_f16 v43, v43, v0, -v99
	v_fma_f16 v83, v83, v0, v100
	s_waitcnt vmcnt(1)
	v_mul_f16_sdwa v99, v76, v7 dst_sel:DWORD dst_unused:UNUSED_PAD src0_sel:DWORD src1_sel:WORD_1
	v_add_f16_e32 v100, v56, v52
	v_fma_f16 v55, v55, v22, -v103
	v_fma_f16 v92, v92, v22, v104
	v_fma_f16 v93, v93, v23, v106
	v_fma_f16 v95, v95, v25, v110
	v_fma_f16 v50, v50, v27, -v113
	v_mul_f16_sdwa v102, v44, v1 dst_sel:DWORD dst_unused:UNUSED_PAD src0_sel:DWORD src1_sel:WORD_1
	v_mul_f16_sdwa v103, v85, v2 dst_sel:DWORD dst_unused:UNUSED_PAD src0_sel:DWORD src1_sel:WORD_1
	;; [unrolled: 1-line block ×4, first 2 shown]
	v_fma_f16 v44, v44, v1, -v101
	v_fma_f16 v99, v40, v7, -v99
	v_mul_f16_sdwa v40, v40, v7 dst_sel:DWORD dst_unused:UNUSED_PAD src0_sel:DWORD src1_sel:WORD_1
	v_fma_f16 v100, v100, -0.5, v46
	v_sub_f16_e32 v101, v91, v97
	v_mul_f16_sdwa v106, v48, v3 dst_sel:DWORD dst_unused:UNUSED_PAD src0_sel:DWORD src1_sel:WORD_1
	v_fma_f16 v84, v84, v1, v102
	v_fma_f16 v45, v45, v2, -v103
	v_fma_f16 v85, v85, v2, v104
	v_fma_f16 v48, v48, v3, -v105
	v_fma_f16 v40, v76, v7, v40
	s_waitcnt vmcnt(0)
	v_mul_f16_sdwa v76, v78, v35 dst_sel:DWORD dst_unused:UNUSED_PAD src0_sel:DWORD src1_sel:WORD_1
	v_fma_f16 v102, v101, s9, v100
	v_sub_f16_e32 v103, v93, v95
	v_sub_f16_e32 v104, v54, v56
	;; [unrolled: 1-line block ×3, first 2 shown]
	v_fma_f16 v100, v101, s1, v100
	v_fma_f16 v76, v41, v35, -v76
	v_mul_f16_sdwa v41, v41, v35 dst_sel:DWORD dst_unused:UNUSED_PAD src0_sel:DWORD src1_sel:WORD_1
	v_fma_f16 v102, v103, s10, v102
	v_add_f16_e32 v104, v104, v105
	v_fma_f16 v100, v103, s0, v100
	v_fma_f16 v41, v78, v35, v41
	v_add_f16_e32 v78, v46, v54
	v_fma_f16 v102, v104, s8, v102
	v_fma_f16 v100, v104, s8, v100
	v_add_f16_e32 v104, v54, v50
	v_add_f16_e32 v78, v78, v56
	v_fma_f16 v46, v104, -0.5, v46
	v_fma_f16 v86, v86, v3, v106
	v_add_f16_e32 v78, v78, v52
	v_fma_f16 v104, v103, s1, v46
	v_sub_f16_e32 v105, v56, v54
	v_sub_f16_e32 v106, v52, v50
	v_fma_f16 v46, v103, s9, v46
	v_add_f16_e32 v103, v93, v95
	v_add_f16_e32 v78, v78, v50
	v_fma_f16 v104, v101, s10, v104
	v_add_f16_e32 v105, v105, v106
	v_fma_f16 v46, v101, s0, v46
	v_fma_f16 v103, v103, -0.5, v89
	v_sub_f16_e32 v50, v54, v50
	v_fma_f16 v104, v105, s8, v104
	v_fma_f16 v46, v105, s8, v46
	;; [unrolled: 1-line block ×3, first 2 shown]
	v_sub_f16_e32 v52, v56, v52
	v_sub_f16_e32 v56, v91, v93
	;; [unrolled: 1-line block ×3, first 2 shown]
	v_fma_f16 v103, v50, s9, v103
	v_fma_f16 v54, v52, s0, v54
	v_add_f16_e32 v56, v56, v105
	v_fma_f16 v103, v52, s10, v103
	v_fma_f16 v54, v56, s8, v54
	;; [unrolled: 1-line block ×3, first 2 shown]
	v_add_f16_e32 v103, v91, v97
	v_mul_f16_sdwa v107, v94, v24 dst_sel:DWORD dst_unused:UNUSED_PAD src0_sel:DWORD src1_sel:WORD_1
	v_mul_f16_sdwa v111, v96, v26 dst_sel:DWORD dst_unused:UNUSED_PAD src0_sel:DWORD src1_sel:WORD_1
	v_add_f16_e32 v101, v89, v91
	v_fma_f16 v89, v103, -0.5, v89
	v_mul_f16_sdwa v108, v57, v24 dst_sel:DWORD dst_unused:UNUSED_PAD src0_sel:DWORD src1_sel:WORD_1
	v_mul_f16_sdwa v112, v53, v26 dst_sel:DWORD dst_unused:UNUSED_PAD src0_sel:DWORD src1_sel:WORD_1
	;; [unrolled: 1-line block ×3, first 2 shown]
	v_fma_f16 v57, v57, v24, -v107
	v_fma_f16 v53, v53, v26, -v111
	v_add_f16_e32 v101, v101, v93
	v_fma_f16 v103, v52, s9, v89
	v_sub_f16_e32 v91, v93, v91
	v_sub_f16_e32 v93, v95, v97
	v_fma_f16 v52, v52, s1, v89
	v_mul_f16_sdwa v115, v98, v73 dst_sel:DWORD dst_unused:UNUSED_PAD src0_sel:DWORD src1_sel:WORD_1
	v_fma_f16 v98, v98, v73, v116
	v_fma_f16 v103, v50, s0, v103
	v_add_f16_e32 v91, v91, v93
	v_fma_f16 v50, v50, s10, v52
	v_add_f16_e32 v89, v57, v53
	v_fma_f16 v94, v94, v24, v108
	v_fma_f16 v96, v96, v26, v112
	v_fma_f16 v51, v51, v73, -v115
	v_add_f16_e32 v101, v101, v95
	v_fma_f16 v93, v91, s8, v103
	v_fma_f16 v50, v91, s8, v50
	v_fma_f16 v89, v89, -0.5, v47
	v_sub_f16_e32 v91, v92, v98
	v_add_f16_e32 v101, v101, v97
	v_fma_f16 v95, v91, s9, v89
	v_sub_f16_e32 v97, v94, v96
	v_sub_f16_e32 v103, v55, v57
	;; [unrolled: 1-line block ×3, first 2 shown]
	v_fma_f16 v89, v91, s1, v89
	v_fma_f16 v95, v97, s10, v95
	v_add_f16_e32 v103, v103, v105
	v_fma_f16 v89, v97, s0, v89
	v_add_f16_e32 v52, v47, v55
	v_fma_f16 v95, v103, s8, v95
	v_fma_f16 v89, v103, s8, v89
	v_add_f16_e32 v103, v55, v51
	v_add_f16_e32 v52, v52, v57
	v_fma_f16 v47, v103, -0.5, v47
	v_add_f16_e32 v52, v52, v53
	v_fma_f16 v103, v97, s1, v47
	v_sub_f16_e32 v105, v57, v55
	v_sub_f16_e32 v106, v53, v51
	v_fma_f16 v47, v97, s9, v47
	v_add_f16_e32 v97, v94, v96
	v_add_f16_e32 v52, v52, v51
	v_fma_f16 v103, v91, s10, v103
	v_add_f16_e32 v105, v105, v106
	v_fma_f16 v47, v91, s0, v47
	v_fma_f16 v97, v97, -0.5, v90
	v_sub_f16_e32 v51, v55, v51
	v_fma_f16 v103, v105, s8, v103
	v_fma_f16 v47, v105, s8, v47
	;; [unrolled: 1-line block ×3, first 2 shown]
	v_sub_f16_e32 v53, v57, v53
	v_sub_f16_e32 v57, v92, v94
	v_sub_f16_e32 v105, v98, v96
	v_fma_f16 v97, v51, s9, v97
	v_fma_f16 v55, v53, s0, v55
	v_add_f16_e32 v57, v57, v105
	v_fma_f16 v97, v53, s10, v97
	v_fma_f16 v55, v57, s8, v55
	;; [unrolled: 1-line block ×3, first 2 shown]
	v_add_f16_e32 v97, v92, v98
	v_add_f16_e32 v91, v90, v92
	v_fma_f16 v90, v97, -0.5, v90
	v_add_f16_e32 v91, v91, v94
	v_fma_f16 v97, v53, s9, v90
	v_sub_f16_e32 v92, v94, v92
	v_sub_f16_e32 v94, v96, v98
	v_fma_f16 v53, v53, s1, v90
	v_add_f16_e32 v91, v91, v96
	v_fma_f16 v97, v51, s0, v97
	v_add_f16_e32 v92, v92, v94
	;; [unrolled: 2-line block ×3, first 2 shown]
	v_fma_f16 v51, v92, s8, v51
	v_mul_f16_e32 v98, 0x34f2, v47
	v_mul_f16_sdwa v109, v75, v5 dst_sel:DWORD dst_unused:UNUSED_PAD src0_sel:DWORD src1_sel:WORD_1
	v_fma_f16 v94, v92, s8, v97
	v_fma_f16 v98, v51, s9, -v98
	v_mul_f16_e32 v106, 0x3a79, v89
	v_mul_f16_e32 v51, 0x34f2, v51
	v_mul_f16_sdwa v110, v38, v5 dst_sel:DWORD dst_unused:UNUSED_PAD src0_sel:DWORD src1_sel:WORD_1
	v_fma_f16 v38, v38, v5, -v109
	v_mul_f16_e32 v90, 0x38b4, v55
	v_mul_f16_e32 v96, 0x3b9c, v94
	v_fma_f16 v106, v57, s10, -v106
	v_fma_f16 v47, v47, s1, -v51
	v_mul_f16_e32 v57, 0x3a79, v57
	v_fma_f16 v90, v95, s11, v90
	v_fma_f16 v96, v103, s8, v96
	v_mul_f16_e32 v95, 0xb8b4, v95
	v_mul_f16_e32 v103, 0xbb9c, v103
	v_add_f16_e32 v51, v50, v47
	v_fma_f16 v57, v89, s0, -v57
	v_sub_f16_e32 v50, v50, v47
	v_add_f16_e32 v47, v48, v38
	v_mul_f16_sdwa v108, v49, v4 dst_sel:DWORD dst_unused:UNUSED_PAD src0_sel:DWORD src1_sel:WORD_1
	v_fma_f16 v75, v75, v5, v110
	v_fma_f16 v55, v55, s11, v95
	;; [unrolled: 1-line block ×3, first 2 shown]
	v_add_f16_e32 v89, v56, v57
	v_sub_f16_e32 v56, v56, v57
	v_fma_f16 v47, v47, -0.5, v42
	v_sub_f16_e32 v57, v84, v40
	v_mul_f16_sdwa v107, v87, v4 dst_sel:DWORD dst_unused:UNUSED_PAD src0_sel:DWORD src1_sel:WORD_1
	v_fma_f16 v87, v87, v4, v108
	v_add_f16_e32 v53, v78, v52
	v_add_f16_e32 v108, v101, v91
	;; [unrolled: 1-line block ×4, first 2 shown]
	v_sub_f16_e32 v52, v78, v52
	v_sub_f16_e32 v91, v101, v91
	;; [unrolled: 1-line block ×4, first 2 shown]
	v_fma_f16 v78, v57, s9, v47
	v_sub_f16_e32 v93, v86, v75
	v_sub_f16_e32 v94, v44, v48
	;; [unrolled: 1-line block ×3, first 2 shown]
	v_fma_f16 v78, v93, s10, v78
	v_add_f16_e32 v94, v94, v101
	v_fma_f16 v101, v94, s8, v78
	v_fma_f16 v47, v57, s1, v47
	v_add_f16_e32 v78, v44, v99
	v_add_f16_e32 v105, v46, v98
	v_sub_f16_e32 v98, v46, v98
	v_add_f16_e32 v46, v42, v44
	v_fma_f16 v47, v93, s0, v47
	v_fma_f16 v42, v78, -0.5, v42
	v_add_f16_e32 v92, v102, v90
	v_sub_f16_e32 v90, v102, v90
	v_fma_f16 v47, v94, s8, v47
	v_fma_f16 v78, v93, s1, v42
	v_sub_f16_e32 v94, v48, v44
	v_sub_f16_e32 v102, v38, v99
	v_fma_f16 v42, v93, s9, v42
	v_add_f16_e32 v94, v94, v102
	v_fma_f16 v42, v57, s0, v42
	v_fma_f16 v78, v57, s10, v78
	;; [unrolled: 1-line block ×3, first 2 shown]
	v_add_f16_e32 v42, v82, v84
	v_add_f16_e32 v42, v42, v86
	;; [unrolled: 1-line block ×6, first 2 shown]
	v_fma_f16 v42, v42, -0.5, v82
	v_sub_f16_e32 v44, v44, v99
	v_add_f16_e32 v46, v46, v38
	v_fma_f16 v102, v94, s8, v78
	v_fma_f16 v78, v44, s1, v42
	v_sub_f16_e32 v38, v48, v38
	v_fma_f16 v48, v38, s0, v78
	v_sub_f16_e32 v78, v84, v86
	v_sub_f16_e32 v94, v40, v75
	v_fma_f16 v42, v44, s9, v42
	v_add_f16_e32 v78, v78, v94
	v_fma_f16 v42, v38, s10, v42
	v_fma_f16 v94, v78, s8, v42
	v_add_f16_e32 v42, v84, v40
	v_fma_f16 v42, v42, -0.5, v82
	v_fma_f16 v48, v78, s8, v48
	v_fma_f16 v78, v38, s9, v42
	v_sub_f16_e32 v82, v86, v84
	v_sub_f16_e32 v40, v75, v40
	v_fma_f16 v38, v38, s1, v42
	v_add_f16_e32 v40, v82, v40
	v_fma_f16 v38, v44, s10, v38
	v_mul_f16_sdwa v111, v77, v6 dst_sel:DWORD dst_unused:UNUSED_PAD src0_sel:DWORD src1_sel:WORD_1
	v_fma_f16 v49, v49, v4, -v107
	v_fma_f16 v86, v40, s8, v38
	v_add_f16_e32 v38, v43, v45
	v_mul_f16_sdwa v112, v39, v6 dst_sel:DWORD dst_unused:UNUSED_PAD src0_sel:DWORD src1_sel:WORD_1
	v_fma_f16 v39, v39, v6, -v111
	v_add_f16_e32 v38, v38, v49
	v_add_f16_e32 v38, v38, v39
	v_fma_f16 v78, v44, s0, v78
	v_add_f16_e32 v44, v38, v76
	v_add_f16_e32 v38, v49, v39
	v_fma_f16 v77, v77, v6, v112
	v_fma_f16 v84, v40, s8, v78
	v_fma_f16 v38, v38, -0.5, v43
	v_sub_f16_e32 v40, v85, v41
	v_fma_f16 v42, v40, s9, v38
	v_sub_f16_e32 v75, v87, v77
	v_sub_f16_e32 v78, v45, v49
	;; [unrolled: 1-line block ×3, first 2 shown]
	v_fma_f16 v38, v40, s1, v38
	v_add_f16_e32 v78, v78, v82
	v_fma_f16 v38, v75, s0, v38
	v_add_f16_e32 v46, v46, v99
	;; [unrolled: 2-line block ×3, first 2 shown]
	v_fma_f16 v42, v75, s10, v42
	v_fma_f16 v38, v38, -0.5, v43
	v_fma_f16 v82, v78, s8, v42
	v_fma_f16 v42, v75, s1, v38
	v_sub_f16_e32 v43, v49, v45
	v_sub_f16_e32 v78, v39, v76
	v_fma_f16 v38, v75, s9, v38
	v_fma_f16 v42, v40, s10, v42
	v_add_f16_e32 v43, v43, v78
	v_fma_f16 v38, v40, s0, v38
	v_fma_f16 v78, v43, s8, v42
	;; [unrolled: 1-line block ×3, first 2 shown]
	v_add_f16_e32 v38, v83, v85
	v_add_f16_e32 v38, v38, v87
	v_add_f16_e32 v38, v38, v77
	v_add_f16_e32 v97, v104, v96
	v_sub_f16_e32 v96, v104, v96
	v_add_f16_e32 v104, v38, v41
	v_add_f16_e32 v38, v87, v77
	v_fma_f16 v38, v38, -0.5, v83
	v_sub_f16_e32 v40, v45, v76
	v_fma_f16 v42, v40, s1, v38
	v_sub_f16_e32 v39, v49, v39
	v_sub_f16_e32 v45, v85, v87
	;; [unrolled: 1-line block ×3, first 2 shown]
	v_fma_f16 v38, v40, s9, v38
	v_fma_f16 v42, v39, s0, v42
	v_add_f16_e32 v45, v45, v49
	v_fma_f16 v38, v39, s10, v38
	v_fma_f16 v49, v45, s8, v42
	;; [unrolled: 1-line block ×3, first 2 shown]
	v_add_f16_e32 v38, v85, v41
	v_fma_f16 v38, v38, -0.5, v83
	v_fma_f16 v42, v39, s9, v38
	v_sub_f16_e32 v75, v87, v85
	v_sub_f16_e32 v41, v77, v41
	v_fma_f16 v42, v40, s0, v42
	v_add_f16_e32 v41, v75, v41
	v_fma_f16 v77, v41, s8, v42
	v_fma_f16 v38, v39, s1, v38
	;; [unrolled: 1-line block ×3, first 2 shown]
	v_mul_f16_e32 v40, 0x3b9c, v77
	v_fma_f16 v83, v41, s8, v38
	v_fma_f16 v87, v78, s8, v40
	v_mul_f16_e32 v78, 0xbb9c, v78
	v_mul_f16_e32 v39, 0x38b4, v49
	;; [unrolled: 1-line block ×3, first 2 shown]
	v_fma_f16 v110, v77, s8, v78
	v_mul_f16_e32 v78, 0x34f2, v83
	v_fma_f16 v85, v82, s11, v39
	v_mul_f16_e32 v41, 0x34f2, v43
	v_fma_f16 v49, v49, s11, v75
	v_fma_f16 v111, v43, s1, -v78
	v_mul_f16_e32 v43, 0x3a79, v45
	v_add_f16_e32 v38, v46, v44
	v_add_f16_e32 v39, v101, v85
	v_mul_f16_e32 v42, 0x3a79, v99
	v_add_f16_e32 v75, v48, v49
	v_fma_f16 v99, v99, s0, -v43
	v_sub_f16_e32 v43, v46, v44
	v_sub_f16_e32 v44, v101, v85
	;; [unrolled: 1-line block ×3, first 2 shown]
	v_pack_b32_f16 v48, v53, v108
	v_pack_b32_f16 v49, v92, v95
	v_add_f16_e32 v107, v100, v106
	ds_write2_b32 v37, v48, v49 offset1:160
	v_pack_b32_f16 v48, v97, v103
	v_pack_b32_f16 v49, v105, v51
	ds_write2_b32 v81, v48, v49 offset0:64 offset1:224
	v_pack_b32_f16 v48, v107, v89
	v_pack_b32_f16 v49, v52, v91
	v_sub_f16_e32 v100, v100, v106
	v_fma_f16 v106, v83, s9, -v41
	v_fma_f16 v109, v45, s10, -v42
	ds_write2_b32 v88, v48, v49 offset1:160
	v_pack_b32_f16 v48, v90, v54
	v_pack_b32_f16 v49, v96, v55
	v_add_f16_e32 v40, v102, v87
	v_add_f16_e32 v41, v57, v106
	;; [unrolled: 1-line block ×7, first 2 shown]
	v_sub_f16_e32 v45, v102, v87
	v_sub_f16_e32 v46, v57, v106
	;; [unrolled: 1-line block ×7, first 2 shown]
	ds_write2_b32 v80, v48, v49 offset0:64 offset1:224
	v_pack_b32_f16 v48, v98, v50
	v_pack_b32_f16 v49, v100, v56
	ds_write2_b32 v79, v48, v49 offset1:160
	s_and_saveexec_b64 s[0:1], vcc
	s_cbranch_execz .LBB0_11
; %bb.10:
	s_mov_b32 s8, 0x5040100
	v_perm_b32 v48, v76, v38, s8
	v_perm_b32 v49, v75, v39, s8
	v_add_u32_e32 v50, 0x100, v37
	ds_write2_b32 v50, v48, v49 offset0:36 offset1:196
	v_perm_b32 v48, v77, v40, s8
	v_perm_b32 v49, v78, v41, s8
	v_add_u32_e32 v50, 0x600, v37
	ds_write2_b32 v50, v48, v49 offset0:36 offset1:196
	;; [unrolled: 4-line block ×5, first 2 shown]
.LBB0_11:
	s_or_b64 exec, exec, s[0:1]
	s_add_u32 s8, s12, 0x1900
	s_addc_u32 s9, s13, 0
	v_lshlrev_b32_e32 v48, 2, v34
	v_mov_b32_e32 v49, 0
	s_movk_i32 s0, 0x1000
	v_lshl_add_u64 v[50:51], s[8:9], 0, v[48:49]
	s_waitcnt lgkmcnt(0)
	s_barrier
	global_load_dword v55, v48, s[8:9]
	global_load_dword v57, v48, s[8:9] offset:640
	global_load_dword v79, v48, s[8:9] offset:1280
	;; [unrolled: 1-line block ×6, first 2 shown]
	v_add_co_u32_e64 v48, s[0:1], s0, v50
	v_add_u32_e32 v53, 0x400, v37
	s_nop 0
	v_addc_co_u32_e64 v49, s[0:1], 0, v51, s[0:1]
	global_load_dword v100, v[48:49], off offset:384
	global_load_dword v101, v[48:49], off offset:1664
	global_load_dword v102, v74, s[8:9]
	ds_read2_b32 v[80:81], v37 offset1:160
	v_add_u32_e32 v52, 0xa00, v37
	v_add_u32_e32 v54, 0xe00, v37
	;; [unrolled: 1-line block ×3, first 2 shown]
	ds_read2_b32 v[88:89], v53 offset0:64 offset1:224
	ds_read2_b32 v[90:91], v52 offset1:160
	ds_read2_b32 v[92:93], v54 offset0:64 offset1:224
	ds_read2_b32 v[94:95], v56 offset1:160
	s_waitcnt lgkmcnt(4)
	v_lshrrev_b32_e32 v74, 16, v80
	v_lshrrev_b32_e32 v103, 16, v81
	s_waitcnt lgkmcnt(3)
	v_lshrrev_b32_e32 v104, 16, v88
	v_lshrrev_b32_e32 v105, 16, v89
	;; [unrolled: 3-line block ×4, first 2 shown]
	s_waitcnt lgkmcnt(0)
	v_lshrrev_b32_e32 v110, 16, v94
	s_waitcnt vmcnt(9)
	v_mul_f16_sdwa v111, v74, v55 dst_sel:DWORD dst_unused:UNUSED_PAD src0_sel:DWORD src1_sel:WORD_1
	v_mul_f16_sdwa v112, v80, v55 dst_sel:DWORD dst_unused:UNUSED_PAD src0_sel:DWORD src1_sel:WORD_1
	s_waitcnt vmcnt(8)
	v_mul_f16_sdwa v113, v103, v57 dst_sel:DWORD dst_unused:UNUSED_PAD src0_sel:DWORD src1_sel:WORD_1
	v_mul_f16_sdwa v114, v81, v57 dst_sel:DWORD dst_unused:UNUSED_PAD src0_sel:DWORD src1_sel:WORD_1
	s_waitcnt vmcnt(7)
	v_mul_f16_sdwa v115, v104, v79 dst_sel:DWORD dst_unused:UNUSED_PAD src0_sel:DWORD src1_sel:WORD_1
	v_mul_f16_sdwa v116, v88, v79 dst_sel:DWORD dst_unused:UNUSED_PAD src0_sel:DWORD src1_sel:WORD_1
	s_waitcnt vmcnt(6)
	v_mul_f16_sdwa v117, v105, v96 dst_sel:DWORD dst_unused:UNUSED_PAD src0_sel:DWORD src1_sel:WORD_1
	v_mul_f16_sdwa v118, v89, v96 dst_sel:DWORD dst_unused:UNUSED_PAD src0_sel:DWORD src1_sel:WORD_1
	s_waitcnt vmcnt(5)
	v_mul_f16_sdwa v119, v106, v97 dst_sel:DWORD dst_unused:UNUSED_PAD src0_sel:DWORD src1_sel:WORD_1
	v_mul_f16_sdwa v120, v90, v97 dst_sel:DWORD dst_unused:UNUSED_PAD src0_sel:DWORD src1_sel:WORD_1
	s_waitcnt vmcnt(4)
	v_mul_f16_sdwa v121, v107, v98 dst_sel:DWORD dst_unused:UNUSED_PAD src0_sel:DWORD src1_sel:WORD_1
	v_mul_f16_sdwa v122, v91, v98 dst_sel:DWORD dst_unused:UNUSED_PAD src0_sel:DWORD src1_sel:WORD_1
	v_fma_f16 v80, v80, v55, -v111
	v_fma_f16 v55, v74, v55, v112
	v_fma_f16 v74, v81, v57, -v113
	v_fma_f16 v57, v103, v57, v114
	;; [unrolled: 2-line block ×5, first 2 shown]
	s_waitcnt vmcnt(3)
	v_mul_f16_sdwa v123, v108, v99 dst_sel:DWORD dst_unused:UNUSED_PAD src0_sel:DWORD src1_sel:WORD_1
	v_mul_f16_sdwa v124, v92, v99 dst_sel:DWORD dst_unused:UNUSED_PAD src0_sel:DWORD src1_sel:WORD_1
	v_fma_f16 v91, v91, v98, -v121
	v_fma_f16 v97, v107, v98, v122
	v_pack_b32_f16 v55, v80, v55
	v_pack_b32_f16 v57, v74, v57
	;; [unrolled: 1-line block ×5, first 2 shown]
	s_waitcnt vmcnt(2)
	v_mul_f16_sdwa v89, v109, v100 dst_sel:DWORD dst_unused:UNUSED_PAD src0_sel:DWORD src1_sel:WORD_1
	v_mul_f16_sdwa v90, v93, v100 dst_sel:DWORD dst_unused:UNUSED_PAD src0_sel:DWORD src1_sel:WORD_1
	v_fma_f16 v92, v92, v99, -v123
	v_fma_f16 v98, v108, v99, v124
	v_pack_b32_f16 v81, v91, v97
	ds_write2_b32 v37, v55, v57 offset1:160
	ds_write2_b32 v53, v74, v79 offset0:64 offset1:224
	ds_write2_b32 v52, v80, v81 offset1:160
	v_fma_f16 v55, v93, v100, -v89
	v_fma_f16 v57, v109, v100, v90
	v_pack_b32_f16 v88, v92, v98
	s_waitcnt vmcnt(0)
	v_mul_f16_sdwa v91, v110, v102 dst_sel:DWORD dst_unused:UNUSED_PAD src0_sel:DWORD src1_sel:WORD_1
	v_mul_f16_sdwa v92, v94, v102 dst_sel:DWORD dst_unused:UNUSED_PAD src0_sel:DWORD src1_sel:WORD_1
	v_pack_b32_f16 v55, v55, v57
	v_fma_f16 v74, v94, v102, -v91
	ds_write2_b32 v54, v88, v55 offset0:64 offset1:224
	v_fma_f16 v55, v110, v102, v92
	v_lshrrev_b32_e32 v57, 16, v95
	v_pack_b32_f16 v55, v74, v55
	v_mul_f16_sdwa v74, v57, v101 dst_sel:DWORD dst_unused:UNUSED_PAD src0_sel:DWORD src1_sel:WORD_1
	v_mul_f16_sdwa v79, v95, v101 dst_sel:DWORD dst_unused:UNUSED_PAD src0_sel:DWORD src1_sel:WORD_1
	v_fma_f16 v74, v95, v101, -v74
	v_fma_f16 v57, v57, v101, v79
	v_pack_b32_f16 v57, v74, v57
	ds_write2_b32 v56, v55, v57 offset1:160
	s_and_saveexec_b64 s[0:1], vcc
	s_cbranch_execz .LBB0_13
; %bb.12:
	global_load_dword v74, v[50:51], off offset:400
	v_add_u32_e32 v55, 0x100, v37
	ds_read2_b32 v[80:81], v55 offset0:36 offset1:196
	s_waitcnt lgkmcnt(0)
	v_lshrrev_b32_e32 v57, 16, v80
	s_waitcnt vmcnt(0)
	v_mul_f16_sdwa v79, v57, v74 dst_sel:DWORD dst_unused:UNUSED_PAD src0_sel:DWORD src1_sel:WORD_1
	v_fma_f16 v79, v80, v74, -v79
	v_mul_f16_sdwa v80, v80, v74 dst_sel:DWORD dst_unused:UNUSED_PAD src0_sel:DWORD src1_sel:WORD_1
	v_fma_f16 v57, v57, v74, v80
	v_pack_b32_f16 v57, v79, v57
	global_load_dword v79, v[50:51], off offset:1040
	v_lshrrev_b32_e32 v74, 16, v81
	s_waitcnt vmcnt(0)
	v_mul_f16_sdwa v80, v74, v79 dst_sel:DWORD dst_unused:UNUSED_PAD src0_sel:DWORD src1_sel:WORD_1
	v_fma_f16 v80, v81, v79, -v80
	v_mul_f16_sdwa v81, v81, v79 dst_sel:DWORD dst_unused:UNUSED_PAD src0_sel:DWORD src1_sel:WORD_1
	v_fma_f16 v74, v74, v79, v81
	v_pack_b32_f16 v74, v80, v74
	ds_write2_b32 v55, v57, v74 offset0:36 offset1:196
	global_load_dword v74, v[50:51], off offset:1680
	v_add_u32_e32 v55, 0x600, v37
	ds_read2_b32 v[80:81], v55 offset0:36 offset1:196
	s_waitcnt lgkmcnt(0)
	v_lshrrev_b32_e32 v57, 16, v80
	s_waitcnt vmcnt(0)
	v_mul_f16_sdwa v79, v57, v74 dst_sel:DWORD dst_unused:UNUSED_PAD src0_sel:DWORD src1_sel:WORD_1
	v_fma_f16 v79, v80, v74, -v79
	v_mul_f16_sdwa v80, v80, v74 dst_sel:DWORD dst_unused:UNUSED_PAD src0_sel:DWORD src1_sel:WORD_1
	v_fma_f16 v57, v57, v74, v80
	v_pack_b32_f16 v57, v79, v57
	global_load_dword v79, v[50:51], off offset:2320
	v_lshrrev_b32_e32 v74, 16, v81
	s_waitcnt vmcnt(0)
	v_mul_f16_sdwa v80, v74, v79 dst_sel:DWORD dst_unused:UNUSED_PAD src0_sel:DWORD src1_sel:WORD_1
	v_fma_f16 v80, v81, v79, -v80
	v_mul_f16_sdwa v81, v81, v79 dst_sel:DWORD dst_unused:UNUSED_PAD src0_sel:DWORD src1_sel:WORD_1
	v_fma_f16 v74, v74, v79, v81
	v_pack_b32_f16 v74, v80, v74
	ds_write2_b32 v55, v57, v74 offset0:36 offset1:196
	global_load_dword v74, v[50:51], off offset:2960
	v_add_u32_e32 v55, 0xb00, v37
	global_load_dword v50, v[50:51], off offset:3600
	ds_read2_b32 v[80:81], v55 offset0:36 offset1:196
	s_waitcnt lgkmcnt(0)
	v_lshrrev_b32_e32 v57, 16, v80
	s_waitcnt vmcnt(1)
	v_mul_f16_sdwa v79, v57, v74 dst_sel:DWORD dst_unused:UNUSED_PAD src0_sel:DWORD src1_sel:WORD_1
	v_fma_f16 v79, v80, v74, -v79
	v_mul_f16_sdwa v80, v80, v74 dst_sel:DWORD dst_unused:UNUSED_PAD src0_sel:DWORD src1_sel:WORD_1
	v_fma_f16 v57, v57, v74, v80
	v_lshrrev_b32_e32 v74, 16, v81
	v_pack_b32_f16 v57, v79, v57
	s_waitcnt vmcnt(0)
	v_mul_f16_sdwa v51, v74, v50 dst_sel:DWORD dst_unused:UNUSED_PAD src0_sel:DWORD src1_sel:WORD_1
	v_mul_f16_sdwa v79, v81, v50 dst_sel:DWORD dst_unused:UNUSED_PAD src0_sel:DWORD src1_sel:WORD_1
	v_fma_f16 v51, v81, v50, -v51
	v_fma_f16 v50, v74, v50, v79
	global_load_dword v74, v[48:49], off offset:144
	v_pack_b32_f16 v50, v51, v50
	ds_write2_b32 v55, v57, v50 offset0:36 offset1:196
	v_add_u32_e32 v55, 0x1000, v37
	ds_read2_b32 v[50:51], v55 offset0:36 offset1:196
	s_waitcnt lgkmcnt(0)
	v_lshrrev_b32_e32 v57, 16, v50
	s_waitcnt vmcnt(0)
	v_mul_f16_sdwa v79, v57, v74 dst_sel:DWORD dst_unused:UNUSED_PAD src0_sel:DWORD src1_sel:WORD_1
	v_fma_f16 v79, v50, v74, -v79
	v_mul_f16_sdwa v50, v50, v74 dst_sel:DWORD dst_unused:UNUSED_PAD src0_sel:DWORD src1_sel:WORD_1
	v_fma_f16 v50, v57, v74, v50
	global_load_dword v74, v[48:49], off offset:784
	v_lshrrev_b32_e32 v57, 16, v51
	v_pack_b32_f16 v50, v79, v50
	s_waitcnt vmcnt(0)
	v_mul_f16_sdwa v79, v57, v74 dst_sel:DWORD dst_unused:UNUSED_PAD src0_sel:DWORD src1_sel:WORD_1
	v_fma_f16 v79, v51, v74, -v79
	v_mul_f16_sdwa v51, v51, v74 dst_sel:DWORD dst_unused:UNUSED_PAD src0_sel:DWORD src1_sel:WORD_1
	v_fma_f16 v51, v57, v74, v51
	global_load_dword v74, v[48:49], off offset:1424
	v_pack_b32_f16 v51, v79, v51
	global_load_dword v48, v[48:49], off offset:2064
	ds_write2_b32 v55, v50, v51 offset0:36 offset1:196
	v_add_u32_e32 v55, 0x1500, v37
	ds_read2_b32 v[50:51], v55 offset0:36 offset1:196
	s_waitcnt lgkmcnt(0)
	v_lshrrev_b32_e32 v57, 16, v50
	s_waitcnt vmcnt(1)
	v_mul_f16_sdwa v79, v57, v74 dst_sel:DWORD dst_unused:UNUSED_PAD src0_sel:DWORD src1_sel:WORD_1
	v_fma_f16 v79, v50, v74, -v79
	v_mul_f16_sdwa v50, v50, v74 dst_sel:DWORD dst_unused:UNUSED_PAD src0_sel:DWORD src1_sel:WORD_1
	v_fma_f16 v50, v57, v74, v50
	v_lshrrev_b32_e32 v57, 16, v51
	s_waitcnt vmcnt(0)
	v_mul_f16_sdwa v49, v57, v48 dst_sel:DWORD dst_unused:UNUSED_PAD src0_sel:DWORD src1_sel:WORD_1
	v_fma_f16 v49, v51, v48, -v49
	v_mul_f16_sdwa v51, v51, v48 dst_sel:DWORD dst_unused:UNUSED_PAD src0_sel:DWORD src1_sel:WORD_1
	v_fma_f16 v48, v57, v48, v51
	v_pack_b32_f16 v50, v79, v50
	v_pack_b32_f16 v48, v49, v48
	ds_write2_b32 v55, v50, v48 offset0:36 offset1:196
.LBB0_13:
	s_or_b64 exec, exec, s[0:1]
	s_waitcnt lgkmcnt(0)
	s_barrier
	ds_read2_b32 v[50:51], v37 offset1:160
	ds_read2_b32 v[48:49], v53 offset0:64 offset1:224
	ds_read2_b32 v[52:53], v52 offset1:160
	ds_read2_b32 v[54:55], v54 offset0:64 offset1:224
	ds_read2_b32 v[56:57], v56 offset1:160
	s_and_saveexec_b64 s[0:1], vcc
	s_cbranch_execz .LBB0_15
; %bb.14:
	v_add_u32_e32 v38, 0x100, v37
	v_add_u32_e32 v40, 0x600, v37
	;; [unrolled: 1-line block ×5, first 2 shown]
	ds_read2_b32 v[38:39], v38 offset0:36 offset1:196
	ds_read2_b32 v[40:41], v40 offset0:36 offset1:196
	;; [unrolled: 1-line block ×5, first 2 shown]
	s_waitcnt lgkmcnt(4)
	v_lshrrev_b32_e32 v76, 16, v38
	v_lshrrev_b32_e32 v75, 16, v39
	s_waitcnt lgkmcnt(3)
	v_lshrrev_b32_e32 v77, 16, v40
	v_lshrrev_b32_e32 v78, 16, v41
	;; [unrolled: 3-line block ×5, first 2 shown]
.LBB0_15:
	s_or_b64 exec, exec, s[0:1]
	s_waitcnt lgkmcnt(1)
	v_add_f16_e32 v74, v52, v54
	v_fma_f16 v74, v74, -0.5, v50
	s_waitcnt lgkmcnt(0)
	v_sub_f16_sdwa v79, v48, v56 dst_sel:DWORD dst_unused:UNUSED_PAD src0_sel:WORD_1 src1_sel:WORD_1
	s_mov_b32 s10, 0xbb9c
	s_movk_i32 s0, 0x3b9c
	v_fma_f16 v80, v79, s10, v74
	v_sub_f16_sdwa v81, v52, v54 dst_sel:DWORD dst_unused:UNUSED_PAD src0_sel:WORD_1 src1_sel:WORD_1
	s_mov_b32 s8, 0xb8b4
	v_sub_f16_e32 v88, v56, v54
	v_sub_f16_e32 v89, v48, v52
	v_fma_f16 v74, v79, s0, v74
	s_movk_i32 s1, 0x38b4
	v_fma_f16 v80, v81, s8, v80
	v_add_f16_e32 v88, v89, v88
	s_movk_i32 s9, 0x34f2
	v_fma_f16 v74, v81, s1, v74
	v_fma_f16 v80, v88, s9, v80
	;; [unrolled: 1-line block ×3, first 2 shown]
	v_add_f16_e32 v88, v48, v56
	v_fma_f16 v88, v88, -0.5, v50
	v_fma_f16 v89, v81, s0, v88
	v_fma_f16 v81, v81, s10, v88
	v_pk_add_f16 v104, v50, v48
	v_fma_f16 v89, v79, s8, v89
	v_sub_f16_e32 v90, v54, v56
	v_sub_f16_e32 v91, v52, v48
	v_fma_f16 v79, v79, s1, v81
	v_add_f16_sdwa v81, v52, v54 dst_sel:DWORD dst_unused:UNUSED_PAD src0_sel:WORD_1 src1_sel:WORD_1
	v_lshrrev_b32_e32 v50, 16, v50
	v_add_f16_e32 v90, v91, v90
	v_fma_f16 v81, v81, -0.5, v50
	v_sub_f16_e32 v88, v48, v56
	v_fma_f16 v89, v90, s9, v89
	v_fma_f16 v79, v90, s9, v79
	;; [unrolled: 1-line block ×3, first 2 shown]
	v_sub_f16_e32 v91, v52, v54
	v_sub_f16_sdwa v92, v48, v52 dst_sel:DWORD dst_unused:UNUSED_PAD src0_sel:WORD_1 src1_sel:WORD_1
	v_sub_f16_sdwa v93, v56, v54 dst_sel:DWORD dst_unused:UNUSED_PAD src0_sel:WORD_1 src1_sel:WORD_1
	v_fma_f16 v81, v88, s10, v81
	v_fma_f16 v90, v91, s1, v90
	v_add_f16_e32 v92, v92, v93
	v_fma_f16 v81, v91, s8, v81
	v_fma_f16 v90, v92, s9, v90
	;; [unrolled: 1-line block ×3, first 2 shown]
	v_add_f16_sdwa v92, v48, v56 dst_sel:DWORD dst_unused:UNUSED_PAD src0_sel:WORD_1 src1_sel:WORD_1
	v_fma_f16 v50, v92, -0.5, v50
	v_fma_f16 v92, v91, s10, v50
	v_sub_f16_sdwa v48, v52, v48 dst_sel:DWORD dst_unused:UNUSED_PAD src0_sel:WORD_1 src1_sel:WORD_1
	v_sub_f16_sdwa v93, v54, v56 dst_sel:DWORD dst_unused:UNUSED_PAD src0_sel:WORD_1 src1_sel:WORD_1
	v_fma_f16 v50, v91, s0, v50
	v_fma_f16 v92, v88, s1, v92
	v_add_f16_e32 v48, v48, v93
	v_fma_f16 v50, v88, s8, v50
	v_fma_f16 v92, v48, s9, v92
	;; [unrolled: 1-line block ×3, first 2 shown]
	v_add_f16_e32 v50, v53, v55
	v_fma_f16 v50, v50, -0.5, v51
	v_sub_f16_sdwa v88, v49, v57 dst_sel:DWORD dst_unused:UNUSED_PAD src0_sel:WORD_1 src1_sel:WORD_1
	v_fma_f16 v91, v88, s10, v50
	v_sub_f16_sdwa v93, v53, v55 dst_sel:DWORD dst_unused:UNUSED_PAD src0_sel:WORD_1 src1_sel:WORD_1
	v_sub_f16_e32 v94, v57, v55
	v_sub_f16_e32 v95, v49, v53
	v_fma_f16 v50, v88, s0, v50
	v_fma_f16 v91, v93, s8, v91
	v_add_f16_e32 v94, v95, v94
	v_fma_f16 v50, v93, s1, v50
	v_fma_f16 v91, v94, s9, v91
	v_fma_f16 v50, v94, s9, v50
	v_add_f16_e32 v94, v49, v57
	v_fma_f16 v94, v94, -0.5, v51
	v_fma_f16 v95, v93, s0, v94
	v_fma_f16 v93, v93, s10, v94
	v_pk_add_f16 v105, v51, v49
	v_fma_f16 v95, v88, s8, v95
	v_sub_f16_e32 v96, v55, v57
	v_sub_f16_e32 v97, v53, v49
	v_fma_f16 v88, v88, s1, v93
	v_add_f16_sdwa v93, v53, v55 dst_sel:DWORD dst_unused:UNUSED_PAD src0_sel:WORD_1 src1_sel:WORD_1
	v_lshrrev_b32_e32 v51, 16, v51
	v_add_f16_e32 v96, v97, v96
	v_fma_f16 v93, v93, -0.5, v51
	v_sub_f16_e32 v94, v49, v57
	v_fma_f16 v95, v96, s9, v95
	v_fma_f16 v88, v96, s9, v88
	;; [unrolled: 1-line block ×3, first 2 shown]
	v_sub_f16_e32 v97, v53, v55
	v_sub_f16_sdwa v98, v49, v53 dst_sel:DWORD dst_unused:UNUSED_PAD src0_sel:WORD_1 src1_sel:WORD_1
	v_sub_f16_sdwa v99, v57, v55 dst_sel:DWORD dst_unused:UNUSED_PAD src0_sel:WORD_1 src1_sel:WORD_1
	v_fma_f16 v93, v94, s10, v93
	v_fma_f16 v96, v97, s1, v96
	v_add_f16_e32 v98, v98, v99
	v_fma_f16 v93, v97, s8, v93
	v_fma_f16 v96, v98, s9, v96
	;; [unrolled: 1-line block ×3, first 2 shown]
	v_add_f16_sdwa v98, v49, v57 dst_sel:DWORD dst_unused:UNUSED_PAD src0_sel:WORD_1 src1_sel:WORD_1
	v_fma_f16 v51, v98, -0.5, v51
	v_fma_f16 v98, v97, s10, v51
	v_sub_f16_sdwa v49, v53, v49 dst_sel:DWORD dst_unused:UNUSED_PAD src0_sel:WORD_1 src1_sel:WORD_1
	v_sub_f16_sdwa v99, v55, v57 dst_sel:DWORD dst_unused:UNUSED_PAD src0_sel:WORD_1 src1_sel:WORD_1
	v_fma_f16 v51, v97, s0, v51
	v_fma_f16 v98, v94, s1, v98
	v_add_f16_e32 v49, v49, v99
	v_fma_f16 v51, v94, s8, v51
	v_fma_f16 v98, v49, s9, v98
	;; [unrolled: 1-line block ×3, first 2 shown]
	v_mul_f16_e32 v97, 0xbb9c, v49
	v_mul_f16_e32 v49, 0xb4f2, v49
	s_mov_b32 s12, 0xb4f2
	v_fma_f16 v49, v88, s0, v49
	v_mul_f16_e32 v51, 0xb8b4, v96
	v_fma_f16 v97, v88, s12, v97
	v_mul_f16_e32 v99, 0xb8b4, v93
	s_mov_b32 s13, 0xba79
	v_add_f16_e32 v112, v48, v49
	v_mul_f16_e32 v88, 0xba79, v93
	v_sub_f16_e32 v120, v48, v49
	v_add_f16_e32 v48, v44, v42
	v_fma_f16 v51, v91, s11, v51
	v_fma_f16 v99, v50, s13, v99
	;; [unrolled: 1-line block ×3, first 2 shown]
	v_fma_f16 v48, v48, -0.5, v38
	v_sub_f16_e32 v49, v77, v86
	v_add_f16_e32 v106, v80, v51
	v_mul_f16_e32 v94, 0xbb9c, v98
	v_add_f16_e32 v108, v79, v97
	v_add_f16_e32 v109, v74, v99
	;; [unrolled: 1-line block ×3, first 2 shown]
	v_sub_f16_e32 v114, v80, v51
	v_sub_f16_e32 v116, v79, v97
	;; [unrolled: 1-line block ×4, first 2 shown]
	v_fma_f16 v50, v49, s10, v48
	v_sub_f16_e32 v51, v82, v85
	v_sub_f16_e32 v74, v40, v42
	;; [unrolled: 1-line block ×3, first 2 shown]
	v_fma_f16 v48, v49, s0, v48
	v_fma_f16 v94, v95, s9, v94
	v_add_f16_e32 v74, v79, v74
	v_fma_f16 v48, v51, s1, v48
	v_add_f16_e32 v107, v89, v94
	v_sub_f16_e32 v115, v89, v94
	v_fma_f16 v89, v74, s9, v48
	v_add_f16_e32 v48, v46, v40
	v_fma_f16 v50, v51, s8, v50
	v_fma_f16 v48, v48, -0.5, v38
	v_mul_f16_e32 v91, 0x38b4, v91
	v_fma_f16 v88, v74, s9, v50
	v_fma_f16 v50, v51, s0, v48
	v_sub_f16_e32 v74, v42, v40
	v_sub_f16_e32 v79, v44, v46
	v_fma_f16 v48, v51, s10, v48
	v_fma_f16 v91, v96, s11, v91
	v_add_f16_e32 v74, v79, v74
	v_fma_f16 v48, v49, s1, v48
	v_add_f16_e32 v110, v90, v91
	v_sub_f16_e32 v118, v90, v91
	v_fma_f16 v91, v74, s9, v48
	v_add_f16_e32 v48, v85, v82
	v_fma_f16 v50, v49, s8, v50
	v_fma_f16 v48, v48, -0.5, v76
	v_sub_f16_e32 v49, v40, v46
	v_fma_f16 v90, v74, s9, v50
	v_fma_f16 v50, v49, s0, v48
	v_sub_f16_e32 v51, v42, v44
	v_sub_f16_e32 v74, v77, v82
	;; [unrolled: 1-line block ×3, first 2 shown]
	v_fma_f16 v48, v49, s10, v48
	v_add_f16_e32 v74, v79, v74
	v_fma_f16 v48, v51, s8, v48
	v_mul_f16_e32 v96, 0x34f2, v98
	v_fma_f16 v93, v74, s9, v48
	v_add_f16_e32 v48, v86, v77
	v_fma_f16 v95, v95, s0, v96
	v_fma_f16 v50, v51, s1, v50
	v_fma_f16 v48, v48, -0.5, v76
	v_add_f16_e32 v111, v92, v95
	v_sub_f16_e32 v119, v92, v95
	v_fma_f16 v92, v74, s9, v50
	v_fma_f16 v50, v51, s10, v48
	v_sub_f16_e32 v74, v82, v77
	v_sub_f16_e32 v79, v85, v86
	v_fma_f16 v48, v51, s0, v48
	v_add_f16_e32 v74, v79, v74
	v_fma_f16 v48, v49, s8, v48
	v_fma_f16 v95, v74, s9, v48
	v_add_f16_e32 v48, v45, v43
	v_fma_f16 v50, v49, s1, v50
	v_fma_f16 v48, v48, -0.5, v39
	v_sub_f16_e32 v49, v78, v87
	v_fma_f16 v94, v74, s9, v50
	v_fma_f16 v50, v49, s10, v48
	v_sub_f16_e32 v51, v83, v84
	v_sub_f16_e32 v74, v41, v43
	;; [unrolled: 1-line block ×3, first 2 shown]
	v_fma_f16 v48, v49, s0, v48
	v_fma_f16 v50, v51, s8, v50
	v_add_f16_e32 v74, v79, v74
	v_fma_f16 v48, v51, s1, v48
	v_fma_f16 v50, v74, s9, v50
	v_fma_f16 v48, v74, s9, v48
	v_add_f16_e32 v74, v47, v41
	v_fma_f16 v74, v74, -0.5, v39
	v_fma_f16 v79, v51, s0, v74
	v_fma_f16 v51, v51, s10, v74
	;; [unrolled: 1-line block ×3, first 2 shown]
	v_sub_f16_e32 v80, v43, v41
	v_sub_f16_e32 v81, v45, v47
	v_fma_f16 v49, v49, s1, v51
	v_add_f16_e32 v51, v84, v83
	v_add_f16_e32 v80, v81, v80
	v_fma_f16 v51, v51, -0.5, v75
	v_sub_f16_e32 v74, v41, v47
	v_fma_f16 v79, v80, s9, v79
	v_fma_f16 v49, v80, s9, v49
	v_fma_f16 v80, v74, s0, v51
	v_sub_f16_e32 v81, v43, v45
	v_sub_f16_e32 v96, v78, v83
	;; [unrolled: 1-line block ×3, first 2 shown]
	v_fma_f16 v51, v74, s10, v51
	v_fma_f16 v80, v81, s1, v80
	v_add_f16_e32 v96, v97, v96
	v_fma_f16 v51, v81, s8, v51
	v_fma_f16 v80, v96, s9, v80
	;; [unrolled: 1-line block ×3, first 2 shown]
	v_add_f16_e32 v96, v87, v78
	v_fma_f16 v96, v96, -0.5, v75
	v_fma_f16 v97, v81, s10, v96
	v_sub_f16_e32 v98, v83, v78
	v_sub_f16_e32 v99, v84, v87
	v_pk_add_f16 v52, v104, v52
	v_fma_f16 v97, v74, s1, v97
	v_add_f16_e32 v98, v99, v98
	v_fma_f16 v81, v81, s0, v96
	v_pk_add_f16 v52, v52, v54
	v_fma_f16 v101, v98, s9, v97
	v_fma_f16 v74, v74, s8, v81
	v_mul_f16_e32 v81, 0xb8b4, v80
	v_mul_f16_e32 v80, 0x3a79, v80
	v_pk_add_f16 v56, v52, v56
	v_pk_add_f16 v52, v105, v53
	v_fma_f16 v74, v98, s9, v74
	v_fma_f16 v96, v50, s11, v81
	v_mul_f16_e32 v81, 0xbb9c, v101
	v_fma_f16 v100, v50, s1, v80
	v_mul_f16_e32 v50, 0x34f2, v101
	v_pk_add_f16 v52, v52, v55
	v_fma_f16 v97, v79, s9, v81
	v_mul_f16_e32 v81, 0xbb9c, v74
	v_fma_f16 v101, v79, s0, v50
	v_mul_f16_e32 v50, 0xb4f2, v74
	v_pk_add_f16 v57, v52, v57
	;; [unrolled: 5-line block ×3, first 2 shown]
	v_pack_b32_f16 v55, v108, v112
	v_pack_b32_f16 v54, v107, v111
	;; [unrolled: 1-line block ×3, first 2 shown]
	v_fma_f16 v99, v48, s13, v81
	v_fma_f16 v103, v48, s1, v49
	s_barrier
	ds_write2_b64 v71, v[52:53], v[54:55] offset1:1
	v_pk_add_f16 v53, v56, v57 neg_lo:[0,1] neg_hi:[0,1]
	v_pack_b32_f16 v55, v115, v119
	v_pack_b32_f16 v54, v114, v118
	;; [unrolled: 1-line block ×3, first 2 shown]
	v_sub_f16_e32 v48, v88, v96
	v_sub_f16_e32 v49, v90, v97
	;; [unrolled: 1-line block ×8, first 2 shown]
	ds_write2_b64 v71, v[52:53], v[54:55] offset0:2 offset1:3
	v_pack_b32_f16 v53, v117, v121
	v_pack_b32_f16 v52, v116, v120
	ds_write_b64 v71, v[52:53] offset:32
	s_and_saveexec_b64 s[0:1], vcc
	s_cbranch_execz .LBB0_17
; %bb.16:
	v_add_f16_e32 v52, v77, v76
	v_add_f16_e32 v53, v78, v75
	;; [unrolled: 1-line block ×16, first 2 shown]
	v_sub_f16_e32 v54, v52, v53
	v_sub_f16_e32 v42, v38, v39
	v_add_f16_e32 v40, v95, v102
	v_add_f16_e32 v44, v94, v101
	;; [unrolled: 1-line block ×10, first 2 shown]
	v_lshl_add_u32 v31, v70, 2, v31
	v_pack_b32_f16 v38, v38, v41
	v_pack_b32_f16 v41, v47, v40
	v_pack_b32_f16 v40, v52, v44
	v_pack_b32_f16 v39, v53, v45
	s_mov_b32 s8, 0x5040100
	ds_write2_b64 v31, v[38:39], v[40:41] offset1:1
	v_pack_b32_f16 v39, v42, v54
	v_perm_b32 v41, v74, v49, s8
	v_perm_b32 v40, v80, v48, s8
	v_pack_b32_f16 v38, v46, v43
	ds_write2_b64 v31, v[38:39], v[40:41] offset0:2 offset1:3
	v_perm_b32 v39, v79, v51, s8
	v_perm_b32 v38, v81, v50, s8
	ds_write_b64 v31, v[38:39] offset:32
.LBB0_17:
	s_or_b64 exec, exec, s[0:1]
	s_waitcnt lgkmcnt(0)
	s_barrier
	ds_read2_b32 v[42:43], v37 offset1:100
	v_add_u32_e32 v31, 0x200, v37
	ds_read2_b32 v[44:45], v31 offset0:72 offset1:172
	v_add_u32_e32 v38, 0x400, v37
	ds_read2_b32 v[46:47], v38 offset0:144 offset1:244
	s_waitcnt lgkmcnt(2)
	v_lshrrev_b32_e32 v41, 16, v43
	v_add_u32_e32 v39, 0x800, v37
	ds_read2_b32 v[52:53], v39 offset0:88 offset1:188
	v_mul_f16_sdwa v94, v8, v41 dst_sel:DWORD dst_unused:UNUSED_PAD src0_sel:WORD_1 src1_sel:DWORD
	s_waitcnt lgkmcnt(2)
	v_lshrrev_b32_e32 v75, 16, v44
	v_add_u32_e32 v39, 0xc00, v37
	v_fma_f16 v94, v8, v43, v94
	v_mul_f16_sdwa v43, v8, v43 dst_sel:DWORD dst_unused:UNUSED_PAD src0_sel:WORD_1 src1_sel:DWORD
	v_lshrrev_b32_e32 v78, 16, v45
	ds_read2_b32 v[54:55], v39 offset0:32 offset1:132
	v_fma_f16 v8, v8, v41, -v43
	v_mul_f16_sdwa v41, v9, v75 dst_sel:DWORD dst_unused:UNUSED_PAD src0_sel:WORD_1 src1_sel:DWORD
	v_mul_f16_sdwa v43, v9, v44 dst_sel:DWORD dst_unused:UNUSED_PAD src0_sel:WORD_1 src1_sel:DWORD
	s_waitcnt lgkmcnt(2)
	v_lshrrev_b32_e32 v82, 16, v46
	v_add_u32_e32 v39, 0xe00, v37
	v_fma_f16 v41, v9, v44, v41
	v_fma_f16 v9, v9, v75, -v43
	v_mul_f16_sdwa v43, v10, v78 dst_sel:DWORD dst_unused:UNUSED_PAD src0_sel:WORD_1 src1_sel:DWORD
	v_mul_f16_sdwa v44, v10, v45 dst_sel:DWORD dst_unused:UNUSED_PAD src0_sel:WORD_1 src1_sel:DWORD
	v_lshrrev_b32_e32 v83, 16, v47
	ds_read2_b32 v[56:57], v39 offset0:104 offset1:204
	v_fma_f16 v43, v10, v45, v43
	v_fma_f16 v10, v10, v78, -v44
	v_mul_f16_sdwa v44, v11, v82 dst_sel:DWORD dst_unused:UNUSED_PAD src0_sel:WORD_1 src1_sel:DWORD
	v_mul_f16_sdwa v45, v11, v46 dst_sel:DWORD dst_unused:UNUSED_PAD src0_sel:WORD_1 src1_sel:DWORD
	s_waitcnt lgkmcnt(2)
	v_lshrrev_b32_e32 v84, 16, v52
	v_add_u32_e32 v40, 0x1200, v37
	v_fma_f16 v44, v11, v46, v44
	v_fma_f16 v11, v11, v82, -v45
	v_mul_f16_sdwa v45, v12, v83 dst_sel:DWORD dst_unused:UNUSED_PAD src0_sel:WORD_1 src1_sel:DWORD
	v_mul_f16_sdwa v46, v12, v47 dst_sel:DWORD dst_unused:UNUSED_PAD src0_sel:WORD_1 src1_sel:DWORD
	v_lshrrev_b32_e32 v85, 16, v53
	ds_read2_b32 v[70:71], v40 offset0:48 offset1:148
	v_fma_f16 v45, v12, v47, v45
	;; [unrolled: 13-line block ×3, first 2 shown]
	v_fma_f16 v14, v14, v85, -v52
	v_mul_f16_sdwa v52, v15, v86 dst_sel:DWORD dst_unused:UNUSED_PAD src0_sel:WORD_1 src1_sel:DWORD
	v_mul_f16_sdwa v53, v15, v54 dst_sel:DWORD dst_unused:UNUSED_PAD src0_sel:WORD_1 src1_sel:DWORD
	s_waitcnt lgkmcnt(2)
	v_lshrrev_b32_e32 v88, 16, v56
	v_fma_f16 v52, v15, v54, v52
	v_fma_f16 v15, v15, v86, -v53
	v_mul_f16_sdwa v53, v16, v87 dst_sel:DWORD dst_unused:UNUSED_PAD src0_sel:WORD_1 src1_sel:DWORD
	v_mul_f16_sdwa v54, v16, v55 dst_sel:DWORD dst_unused:UNUSED_PAD src0_sel:WORD_1 src1_sel:DWORD
	v_lshrrev_b32_e32 v89, 16, v57
	v_fma_f16 v53, v16, v55, v53
	v_fma_f16 v16, v16, v87, -v54
	v_mul_f16_sdwa v54, v17, v88 dst_sel:DWORD dst_unused:UNUSED_PAD src0_sel:WORD_1 src1_sel:DWORD
	v_mul_f16_sdwa v55, v17, v56 dst_sel:DWORD dst_unused:UNUSED_PAD src0_sel:WORD_1 src1_sel:DWORD
	s_waitcnt lgkmcnt(1)
	v_lshrrev_b32_e32 v90, 16, v70
	v_fma_f16 v54, v17, v56, v54
	v_fma_f16 v17, v17, v88, -v55
	v_mul_f16_sdwa v55, v18, v89 dst_sel:DWORD dst_unused:UNUSED_PAD src0_sel:WORD_1 src1_sel:DWORD
	v_mul_f16_sdwa v56, v18, v57 dst_sel:DWORD dst_unused:UNUSED_PAD src0_sel:WORD_1 src1_sel:DWORD
	v_lshrrev_b32_e32 v91, 16, v71
	v_fma_f16 v55, v18, v57, v55
	v_fma_f16 v18, v18, v89, -v56
	v_mul_f16_sdwa v56, v19, v90 dst_sel:DWORD dst_unused:UNUSED_PAD src0_sel:WORD_1 src1_sel:DWORD
	v_mul_f16_sdwa v57, v19, v70 dst_sel:DWORD dst_unused:UNUSED_PAD src0_sel:WORD_1 src1_sel:DWORD
	s_waitcnt lgkmcnt(0)
	v_lshrrev_b32_e32 v92, 16, v76
	v_fma_f16 v56, v19, v70, v56
	v_fma_f16 v19, v19, v90, -v57
	v_mul_f16_sdwa v57, v28, v91 dst_sel:DWORD dst_unused:UNUSED_PAD src0_sel:WORD_1 src1_sel:DWORD
	v_mul_f16_sdwa v70, v28, v71 dst_sel:DWORD dst_unused:UNUSED_PAD src0_sel:WORD_1 src1_sel:DWORD
	v_fma_f16 v57, v28, v71, v57
	v_fma_f16 v28, v28, v91, -v70
	v_mul_f16_sdwa v70, v29, v92 dst_sel:DWORD dst_unused:UNUSED_PAD src0_sel:WORD_1 src1_sel:DWORD
	v_fma_f16 v70, v29, v76, v70
	v_mul_f16_sdwa v71, v29, v76 dst_sel:DWORD dst_unused:UNUSED_PAD src0_sel:WORD_1 src1_sel:DWORD
	v_lshrrev_b32_e32 v31, 16, v42
	v_lshrrev_b32_e32 v93, 16, v77
	v_fma_f16 v29, v29, v92, -v71
	v_sub_f16_e32 v52, v42, v52
	v_sub_f16_e32 v56, v44, v56
	;; [unrolled: 1-line block ×4, first 2 shown]
	v_mul_f16_sdwa v71, v30, v93 dst_sel:DWORD dst_unused:UNUSED_PAD src0_sel:WORD_1 src1_sel:DWORD
	v_sub_f16_e32 v15, v31, v15
	v_fma_f16 v42, v42, 2.0, -v52
	v_sub_f16_e32 v19, v11, v19
	v_fma_f16 v44, v44, 2.0, -v56
	;; [unrolled: 2-line block ×4, first 2 shown]
	v_fma_f16 v71, v30, v77, v71
	v_fma_f16 v31, v31, 2.0, -v15
	v_fma_f16 v11, v11, 2.0, -v19
	;; [unrolled: 1-line block ×4, first 2 shown]
	v_sub_f16_e32 v44, v42, v44
	v_add_f16_e32 v19, v52, v19
	v_sub_f16_e32 v46, v41, v46
	v_add_f16_e32 v29, v54, v29
	v_mul_f16_sdwa v75, v30, v77 dst_sel:DWORD dst_unused:UNUSED_PAD src0_sel:WORD_1 src1_sel:DWORD
	v_sub_f16_e32 v53, v94, v53
	v_sub_f16_e32 v57, v45, v57
	;; [unrolled: 1-line block ×5, first 2 shown]
	v_fma_f16 v42, v42, 2.0, -v44
	v_sub_f16_e32 v56, v15, v56
	v_fma_f16 v52, v52, 2.0, -v19
	v_sub_f16_e32 v13, v9, v13
	;; [unrolled: 2-line block ×3, first 2 shown]
	v_fma_f16 v54, v54, 2.0, -v29
	s_mov_b32 s0, 0xb9a8
	v_fma_f16 v30, v30, v93, -v75
	v_fma_f16 v75, v94, 2.0, -v53
	v_fma_f16 v45, v45, 2.0, -v57
	;; [unrolled: 1-line block ×8, first 2 shown]
	v_sub_f16_e32 v76, v42, v41
	v_fma_f16 v41, v54, s0, v52
	s_movk_i32 s1, 0x39a8
	v_sub_f16_e32 v16, v8, v16
	v_sub_f16_e32 v28, v12, v28
	;; [unrolled: 1-line block ×7, first 2 shown]
	v_fma_f16 v9, v42, 2.0, -v76
	v_fma_f16 v42, v17, s0, v15
	v_fma_f16 v17, v17, s1, v41
	v_fma_f16 v8, v8, 2.0, -v16
	v_fma_f16 v12, v12, 2.0, -v28
	;; [unrolled: 1-line block ×5, first 2 shown]
	v_add_f16_e32 v28, v53, v28
	v_sub_f16_e32 v57, v16, v57
	v_fma_f16 v43, v43, 2.0, -v47
	v_add_f16_e32 v30, v55, v30
	v_sub_f16_e32 v71, v18, v71
	v_fma_f16 v41, v52, 2.0, -v17
	v_add_f16_e32 v13, v44, v13
	v_sub_f16_e32 v52, v11, v46
	v_fma_f16 v46, v70, s1, v56
	v_sub_f16_e32 v12, v8, v12
	v_fma_f16 v53, v53, 2.0, -v28
	v_fma_f16 v16, v16, 2.0, -v57
	v_sub_f16_e32 v14, v10, v14
	v_fma_f16 v55, v55, 2.0, -v30
	v_fma_f16 v18, v18, 2.0, -v71
	v_fma_f16 v54, v54, s0, v42
	v_fma_f16 v42, v44, 2.0, -v13
	v_fma_f16 v44, v29, s1, v19
	v_fma_f16 v29, v29, s0, v46
	v_sub_f16_e32 v43, v75, v43
	v_fma_f16 v8, v8, 2.0, -v12
	v_fma_f16 v10, v10, 2.0, -v14
	v_fma_f16 v70, v70, s1, v44
	v_fma_f16 v44, v56, 2.0, -v29
	v_fma_f16 v46, v75, 2.0, -v43
	v_fma_f16 v56, v55, s0, v53
	v_fma_f16 v75, v18, s0, v16
	v_sub_f16_e32 v10, v8, v10
	v_fma_f16 v18, v18, s1, v56
	v_fma_f16 v55, v55, s0, v75
	;; [unrolled: 1-line block ×3, first 2 shown]
	v_fma_f16 v31, v31, 2.0, -v77
	v_fma_f16 v15, v15, 2.0, -v54
	;; [unrolled: 1-line block ×5, first 2 shown]
	v_sub_f16_e32 v47, v12, v47
	v_fma_f16 v75, v71, s1, v57
	v_fma_f16 v56, v71, s1, v56
	v_sub_f16_e32 v71, v9, v46
	s_mov_b32 s8, 0xbb64
	v_fma_f16 v11, v11, 2.0, -v52
	v_add_f16_e32 v14, v45, v14
	v_fma_f16 v12, v12, 2.0, -v47
	v_fma_f16 v30, v30, s0, v75
	v_sub_f16_e32 v75, v31, v8
	v_fma_f16 v78, v9, 2.0, -v71
	v_fma_f16 v8, v53, s8, v41
	v_fma_f16 v9, v16, s8, v15
	s_movk_i32 s9, 0x361f
	s_mov_b32 s10, 0xb61f
	v_fma_f16 v45, v45, 2.0, -v14
	v_fma_f16 v16, v16, s9, v8
	v_fma_f16 v53, v53, s10, v9
	;; [unrolled: 1-line block ×3, first 2 shown]
	v_fma_f16 v57, v57, 2.0, -v30
	v_fma_f16 v82, v41, 2.0, -v16
	v_fma_f16 v8, v45, s0, v42
	v_fma_f16 v41, v45, s0, v9
	v_fma_f16 v28, v28, 2.0, -v56
	v_fma_f16 v8, v12, s1, v8
	v_fma_f16 v84, v11, 2.0, -v41
	;; [unrolled: 2-line block ×3, first 2 shown]
	v_fma_f16 v83, v42, 2.0, -v8
	v_fma_f16 v42, v28, s8, v11
	v_fma_f16 v12, v55, s9, v54
	;; [unrolled: 1-line block ×3, first 2 shown]
	s_movk_i32 s11, 0x3b64
	v_fma_f16 v28, v44, 2.0, -v42
	v_sub_f16_e32 v44, v77, v43
	v_fma_f16 v43, v18, s8, v12
	v_fma_f16 v12, v14, s1, v13
	v_fma_f16 v31, v31, 2.0, -v75
	v_fma_f16 v15, v15, 2.0, -v53
	v_fma_f16 v9, v57, s11, v9
	v_fma_f16 v11, v18, s9, v17
	;; [unrolled: 1-line block ×4, first 2 shown]
	v_fma_f16 v19, v19, 2.0, -v9
	v_add_f16_e32 v10, v76, v10
	v_fma_f16 v11, v55, s11, v11
	v_fma_f16 v46, v14, s0, v45
	v_fma_f16 v14, v13, 2.0, -v12
	v_fma_f16 v13, v56, s11, v70
	v_fma_f16 v45, v30, s11, v29
	v_pack_b32_f16 v31, v78, v31
	v_pack_b32_f16 v15, v82, v15
	v_fma_f16 v57, v76, 2.0, -v10
	v_fma_f16 v76, v77, 2.0, -v44
	;; [unrolled: 1-line block ×4, first 2 shown]
	v_fma_f16 v13, v30, s9, v13
	v_fma_f16 v45, v56, s10, v45
	s_barrier
	ds_write2_b32 v72, v31, v15 offset1:10
	v_pack_b32_f16 v15, v83, v84
	v_pack_b32_f16 v19, v19, v28
	v_fma_f16 v47, v52, 2.0, -v46
	v_fma_f16 v30, v70, 2.0, -v13
	;; [unrolled: 1-line block ×3, first 2 shown]
	ds_write2_b32 v72, v15, v19 offset0:20 offset1:30
	v_pack_b32_f16 v15, v57, v76
	v_pack_b32_f16 v17, v17, v18
	ds_write2_b32 v72, v15, v17 offset0:40 offset1:50
	v_pack_b32_f16 v14, v14, v47
	v_pack_b32_f16 v15, v30, v29
	;; [unrolled: 3-line block ×6, first 2 shown]
	v_add_u32_e32 v47, 0xa00, v37
	ds_write2_b32 v72, v14, v15 offset0:140 offset1:150
	s_waitcnt lgkmcnt(0)
	s_barrier
	ds_read2_b32 v[14:15], v37 offset1:160
	ds_read2_b32 v[30:31], v38 offset0:64 offset1:224
	ds_read2_b32 v[28:29], v47 offset1:160
	ds_read2_b32 v[18:19], v39 offset0:64 offset1:224
	ds_read2_b32 v[16:17], v40 offset1:160
	s_and_saveexec_b64 s[0:1], vcc
	s_cbranch_execz .LBB0_19
; %bb.18:
	v_add_u32_e32 v45, 0x1000, v37
	v_add_u32_e32 v8, 0x100, v37
	;; [unrolled: 1-line block ×4, first 2 shown]
	ds_read2_b32 v[48:49], v45 offset0:36 offset1:196
	v_add_u32_e32 v45, 0x1500, v37
	ds_read2_b32 v[8:9], v8 offset0:36 offset1:196
	ds_read2_b32 v[10:11], v10 offset0:36 offset1:196
	;; [unrolled: 1-line block ×4, first 2 shown]
	s_waitcnt lgkmcnt(4)
	v_lshrrev_b32_e32 v80, 16, v48
	s_waitcnt lgkmcnt(3)
	v_lshrrev_b32_e32 v41, 16, v8
	v_lshrrev_b32_e32 v42, 16, v9
	s_waitcnt lgkmcnt(2)
	v_lshrrev_b32_e32 v44, 16, v10
	;; [unrolled: 3-line block ×3, first 2 shown]
	v_lshrrev_b32_e32 v45, 16, v13
	v_lshrrev_b32_e32 v74, 16, v49
	s_waitcnt lgkmcnt(0)
	v_lshrrev_b32_e32 v81, 16, v50
	v_lshrrev_b32_e32 v79, 16, v51
.LBB0_19:
	s_or_b64 exec, exec, s[0:1]
	s_waitcnt lgkmcnt(4)
	v_lshrrev_b32_e32 v53, 16, v15
	v_mul_f16_sdwa v76, v20, v53 dst_sel:DWORD dst_unused:UNUSED_PAD src0_sel:WORD_1 src1_sel:DWORD
	s_waitcnt lgkmcnt(3)
	v_lshrrev_b32_e32 v54, 16, v30
	v_fma_f16 v76, v20, v15, v76
	v_mul_f16_sdwa v15, v20, v15 dst_sel:DWORD dst_unused:UNUSED_PAD src0_sel:WORD_1 src1_sel:DWORD
	v_fma_f16 v15, v20, v53, -v15
	v_mul_f16_sdwa v20, v21, v54 dst_sel:DWORD dst_unused:UNUSED_PAD src0_sel:WORD_1 src1_sel:DWORD
	v_lshrrev_b32_e32 v55, 16, v31
	v_fma_f16 v20, v21, v30, v20
	v_mul_f16_sdwa v30, v21, v30 dst_sel:DWORD dst_unused:UNUSED_PAD src0_sel:WORD_1 src1_sel:DWORD
	v_fma_f16 v21, v21, v54, -v30
	v_mul_f16_sdwa v30, v22, v55 dst_sel:DWORD dst_unused:UNUSED_PAD src0_sel:WORD_1 src1_sel:DWORD
	s_waitcnt lgkmcnt(2)
	v_lshrrev_b32_e32 v56, 16, v28
	v_fma_f16 v30, v22, v31, v30
	v_mul_f16_sdwa v31, v22, v31 dst_sel:DWORD dst_unused:UNUSED_PAD src0_sel:WORD_1 src1_sel:DWORD
	v_fma_f16 v22, v22, v55, -v31
	v_mul_f16_sdwa v31, v23, v56 dst_sel:DWORD dst_unused:UNUSED_PAD src0_sel:WORD_1 src1_sel:DWORD
	v_lshrrev_b32_e32 v57, 16, v29
	v_fma_f16 v31, v23, v28, v31
	v_mul_f16_sdwa v28, v23, v28 dst_sel:DWORD dst_unused:UNUSED_PAD src0_sel:WORD_1 src1_sel:DWORD
	v_fma_f16 v23, v23, v56, -v28
	v_mul_f16_sdwa v28, v24, v57 dst_sel:DWORD dst_unused:UNUSED_PAD src0_sel:WORD_1 src1_sel:DWORD
	s_waitcnt lgkmcnt(1)
	v_lshrrev_b32_e32 v70, 16, v18
	v_fma_f16 v28, v24, v29, v28
	v_mul_f16_sdwa v29, v24, v29 dst_sel:DWORD dst_unused:UNUSED_PAD src0_sel:WORD_1 src1_sel:DWORD
	v_fma_f16 v24, v24, v57, -v29
	v_mul_f16_sdwa v29, v25, v70 dst_sel:DWORD dst_unused:UNUSED_PAD src0_sel:WORD_1 src1_sel:DWORD
	v_lshrrev_b32_e32 v71, 16, v19
	v_fma_f16 v29, v25, v18, v29
	v_mul_f16_sdwa v18, v25, v18 dst_sel:DWORD dst_unused:UNUSED_PAD src0_sel:WORD_1 src1_sel:DWORD
	v_fma_f16 v18, v25, v70, -v18
	v_mul_f16_sdwa v25, v26, v71 dst_sel:DWORD dst_unused:UNUSED_PAD src0_sel:WORD_1 src1_sel:DWORD
	s_waitcnt lgkmcnt(0)
	v_lshrrev_b32_e32 v72, 16, v16
	v_fma_f16 v25, v26, v19, v25
	v_mul_f16_sdwa v19, v26, v19 dst_sel:DWORD dst_unused:UNUSED_PAD src0_sel:WORD_1 src1_sel:DWORD
	v_fma_f16 v19, v26, v71, -v19
	v_mul_f16_sdwa v26, v27, v72 dst_sel:DWORD dst_unused:UNUSED_PAD src0_sel:WORD_1 src1_sel:DWORD
	v_fma_f16 v26, v27, v16, v26
	v_mul_f16_sdwa v16, v27, v16 dst_sel:DWORD dst_unused:UNUSED_PAD src0_sel:WORD_1 src1_sel:DWORD
	v_fma_f16 v16, v27, v72, -v16
	v_add_f16_e32 v54, v31, v29
	v_fma_f16 v54, v54, -0.5, v14
	v_sub_f16_e32 v55, v21, v16
	s_mov_b32 s8, 0xbb9c
	s_movk_i32 s11, 0x3b9c
	v_fma_f16 v56, v55, s8, v54
	v_sub_f16_e32 v57, v23, v18
	s_mov_b32 s9, 0xb8b4
	v_sub_f16_e32 v70, v20, v31
	v_sub_f16_e32 v71, v26, v29
	v_fma_f16 v54, v55, s11, v54
	s_movk_i32 s12, 0x38b4
	v_fma_f16 v56, v57, s9, v56
	v_add_f16_e32 v70, v70, v71
	s_movk_i32 s10, 0x34f2
	v_fma_f16 v54, v57, s12, v54
	v_fma_f16 v56, v70, s10, v56
	;; [unrolled: 1-line block ×3, first 2 shown]
	v_add_f16_e32 v70, v20, v26
	v_lshrrev_b32_e32 v52, 16, v14
	v_add_f16_e32 v53, v14, v20
	v_fma_f16 v14, v70, -0.5, v14
	v_add_f16_e32 v53, v53, v31
	v_fma_f16 v70, v57, s11, v14
	v_sub_f16_e32 v71, v31, v20
	v_sub_f16_e32 v72, v29, v26
	v_fma_f16 v14, v57, s8, v14
	v_add_f16_e32 v57, v23, v18
	v_add_f16_e32 v53, v53, v29
	v_fma_f16 v70, v55, s9, v70
	v_add_f16_e32 v71, v71, v72
	v_fma_f16 v14, v55, s12, v14
	v_fma_f16 v57, v57, -0.5, v52
	v_sub_f16_e32 v20, v20, v26
	v_add_f16_e32 v53, v53, v26
	v_fma_f16 v70, v71, s10, v70
	v_fma_f16 v14, v71, s10, v14
	v_add_f16_e32 v55, v52, v21
	v_fma_f16 v26, v20, s11, v57
	v_sub_f16_e32 v29, v31, v29
	v_sub_f16_e32 v31, v21, v23
	v_sub_f16_e32 v71, v16, v18
	v_fma_f16 v57, v20, s8, v57
	v_add_f16_e32 v55, v55, v23
	v_fma_f16 v26, v29, s12, v26
	v_add_f16_e32 v31, v31, v71
	v_fma_f16 v57, v29, s9, v57
	v_lshrrev_b32_e32 v75, 16, v17
	v_add_f16_e32 v55, v55, v18
	v_fma_f16 v26, v31, s10, v26
	v_fma_f16 v31, v31, s10, v57
	v_add_f16_e32 v57, v21, v16
	v_mul_f16_sdwa v27, v73, v75 dst_sel:DWORD dst_unused:UNUSED_PAD src0_sel:WORD_1 src1_sel:DWORD
	v_add_f16_e32 v55, v55, v16
	v_fma_f16 v52, v57, -0.5, v52
	v_sub_f16_e32 v21, v23, v21
	v_sub_f16_e32 v16, v18, v16
	v_fma_f16 v27, v73, v17, v27
	v_mul_f16_sdwa v17, v73, v17 dst_sel:DWORD dst_unused:UNUSED_PAD src0_sel:WORD_1 src1_sel:DWORD
	v_fma_f16 v57, v29, s8, v52
	v_add_f16_e32 v16, v21, v16
	v_fma_f16 v21, v29, s11, v52
	v_fma_f16 v17, v73, v75, -v17
	v_fma_f16 v57, v20, s12, v57
	v_fma_f16 v20, v20, s9, v21
	v_add_f16_e32 v21, v28, v25
	v_fma_f16 v21, v21, -0.5, v76
	v_sub_f16_e32 v23, v22, v17
	v_fma_f16 v18, v16, s10, v57
	v_fma_f16 v29, v23, s8, v21
	v_sub_f16_e32 v52, v24, v19
	v_sub_f16_e32 v57, v30, v28
	;; [unrolled: 1-line block ×3, first 2 shown]
	v_fma_f16 v21, v23, s11, v21
	v_fma_f16 v29, v52, s9, v29
	v_add_f16_e32 v57, v57, v71
	v_fma_f16 v21, v52, s12, v21
	v_fma_f16 v16, v16, s10, v20
	v_add_f16_e32 v20, v76, v30
	v_fma_f16 v29, v57, s10, v29
	v_fma_f16 v21, v57, s10, v21
	v_add_f16_e32 v57, v30, v27
	v_add_f16_e32 v20, v20, v28
	v_fma_f16 v57, v57, -0.5, v76
	v_add_f16_e32 v20, v20, v25
	v_fma_f16 v71, v52, s11, v57
	v_fma_f16 v52, v52, s8, v57
	v_add_f16_e32 v57, v24, v19
	v_add_f16_e32 v20, v20, v27
	v_sub_f16_e32 v72, v28, v30
	v_sub_f16_e32 v73, v25, v27
	v_fma_f16 v57, v57, -0.5, v15
	v_sub_f16_e32 v27, v30, v27
	v_fma_f16 v71, v23, s9, v71
	v_add_f16_e32 v72, v72, v73
	v_fma_f16 v23, v23, s12, v52
	v_fma_f16 v30, v27, s11, v57
	v_sub_f16_e32 v25, v28, v25
	v_fma_f16 v71, v72, s10, v71
	v_fma_f16 v23, v72, s10, v23
	;; [unrolled: 1-line block ×3, first 2 shown]
	v_sub_f16_e32 v30, v22, v24
	v_sub_f16_e32 v72, v17, v19
	v_fma_f16 v57, v27, s8, v57
	v_add_f16_e32 v52, v15, v22
	v_add_f16_e32 v30, v30, v72
	v_fma_f16 v57, v25, s9, v57
	v_add_f16_e32 v52, v52, v24
	v_fma_f16 v28, v30, s10, v28
	v_fma_f16 v30, v30, s10, v57
	v_add_f16_e32 v57, v22, v17
	v_add_f16_e32 v52, v52, v19
	v_fma_f16 v15, v57, -0.5, v15
	v_add_f16_e32 v52, v52, v17
	v_fma_f16 v57, v25, s8, v15
	v_sub_f16_e32 v22, v24, v22
	v_sub_f16_e32 v17, v19, v17
	v_fma_f16 v15, v25, s11, v15
	v_fma_f16 v57, v27, s12, v57
	v_add_f16_e32 v17, v22, v17
	v_fma_f16 v15, v27, s9, v15
	v_fma_f16 v19, v17, s10, v57
	;; [unrolled: 1-line block ×3, first 2 shown]
	v_mul_f16_e32 v22, 0xb8b4, v28
	s_movk_i32 s13, 0x3a79
	v_mul_f16_e32 v28, 0x3a79, v28
	v_fma_f16 v22, v29, s13, v22
	v_mul_f16_e32 v25, 0xbb9c, v19
	v_mul_f16_e32 v57, 0xbb9c, v15
	s_mov_b32 s14, 0xb4f2
	v_fma_f16 v28, v29, s12, v28
	v_mul_f16_e32 v19, 0x34f2, v19
	v_mul_f16_e32 v15, 0xb4f2, v15
	v_add_f16_e32 v17, v53, v20
	v_add_f16_e32 v24, v56, v22
	v_fma_f16 v25, v71, s10, v25
	v_fma_f16 v57, v23, s14, v57
	v_mul_f16_e32 v73, 0xb8b4, v30
	s_mov_b32 s15, 0xba79
	v_add_f16_e32 v76, v55, v52
	v_add_f16_e32 v29, v26, v28
	v_fma_f16 v19, v71, s11, v19
	v_fma_f16 v15, v23, s11, v15
	v_mul_f16_e32 v30, 0xba79, v30
	v_add_f16_e32 v27, v70, v25
	v_add_f16_e32 v72, v14, v57
	v_fma_f16 v73, v21, s15, v73
	v_add_f16_e32 v71, v18, v19
	v_add_f16_e32 v23, v16, v15
	v_fma_f16 v21, v21, s12, v30
	v_sub_f16_e32 v18, v18, v19
	v_pack_b32_f16 v17, v17, v76
	v_pack_b32_f16 v19, v24, v29
	v_add_f16_e32 v75, v54, v73
	v_add_f16_e32 v30, v31, v21
	v_sub_f16_e32 v20, v53, v20
	v_sub_f16_e32 v52, v55, v52
	ds_write2_b32 v37, v17, v19 offset1:160
	v_pack_b32_f16 v17, v27, v71
	v_pack_b32_f16 v19, v72, v23
	v_sub_f16_e32 v22, v56, v22
	v_sub_f16_e32 v25, v70, v25
	;; [unrolled: 1-line block ×7, first 2 shown]
	ds_write2_b32 v38, v17, v19 offset0:64 offset1:224
	v_pack_b32_f16 v17, v75, v30
	v_pack_b32_f16 v19, v20, v52
	ds_write2_b32 v47, v17, v19 offset1:160
	v_pack_b32_f16 v17, v22, v26
	v_pack_b32_f16 v18, v25, v18
	;; [unrolled: 1-line block ×4, first 2 shown]
	ds_write2_b32 v39, v17, v18 offset0:64 offset1:224
	ds_write2_b32 v40, v14, v15 offset1:160
	s_and_saveexec_b64 s[0:1], vcc
	s_cbranch_execz .LBB0_21
; %bb.20:
	v_mul_f16_sdwa v15, v3, v12 dst_sel:DWORD dst_unused:UNUSED_PAD src0_sel:WORD_1 src1_sel:DWORD
	v_mul_f16_sdwa v21, v3, v46 dst_sel:DWORD dst_unused:UNUSED_PAD src0_sel:WORD_1 src1_sel:DWORD
	v_fma_f16 v15, v3, v46, -v15
	v_fma_f16 v3, v3, v12, v21
	v_mul_f16_sdwa v21, v2, v43 dst_sel:DWORD dst_unused:UNUSED_PAD src0_sel:WORD_1 src1_sel:DWORD
	v_mul_f16_sdwa v22, v4, v45 dst_sel:DWORD dst_unused:UNUSED_PAD src0_sel:WORD_1 src1_sel:DWORD
	;; [unrolled: 1-line block ×4, first 2 shown]
	v_fma_f16 v21, v2, v11, v21
	v_fma_f16 v22, v4, v13, v22
	;; [unrolled: 1-line block ×4, first 2 shown]
	v_sub_f16_e32 v23, v21, v22
	v_sub_f16_e32 v26, v24, v25
	v_mul_f16_sdwa v14, v1, v10 dst_sel:DWORD dst_unused:UNUSED_PAD src0_sel:WORD_1 src1_sel:DWORD
	v_mul_f16_sdwa v17, v7, v50 dst_sel:DWORD dst_unused:UNUSED_PAD src0_sel:WORD_1 src1_sel:DWORD
	;; [unrolled: 1-line block ×3, first 2 shown]
	v_add_f16_e32 v23, v26, v23
	v_mul_f16_sdwa v26, v0, v42 dst_sel:DWORD dst_unused:UNUSED_PAD src0_sel:WORD_1 src1_sel:DWORD
	v_fma_f16 v14, v1, v44, -v14
	v_fma_f16 v17, v7, v81, -v17
	;; [unrolled: 1-line block ×3, first 2 shown]
	v_fma_f16 v26, v0, v9, v26
	v_mul_f16_sdwa v11, v2, v11 dst_sel:DWORD dst_unused:UNUSED_PAD src0_sel:WORD_1 src1_sel:DWORD
	v_mul_f16_sdwa v13, v4, v13 dst_sel:DWORD dst_unused:UNUSED_PAD src0_sel:WORD_1 src1_sel:DWORD
	;; [unrolled: 1-line block ×5, first 2 shown]
	v_fma_f16 v2, v2, v43, -v11
	v_mul_f16_sdwa v11, v35, v51 dst_sel:DWORD dst_unused:UNUSED_PAD src0_sel:WORD_1 src1_sel:DWORD
	v_fma_f16 v4, v4, v45, -v13
	v_mul_f16_sdwa v13, v6, v49 dst_sel:DWORD dst_unused:UNUSED_PAD src0_sel:WORD_1 src1_sel:DWORD
	v_fma_f16 v0, v0, v42, -v9
	v_sub_f16_e32 v42, v15, v14
	v_sub_f16_e32 v43, v18, v17
	v_sub_f16_e32 v16, v14, v15
	v_sub_f16_e32 v19, v17, v18
	v_fma_f16 v1, v1, v10, v20
	v_mul_f16_sdwa v10, v7, v81 dst_sel:DWORD dst_unused:UNUSED_PAD src0_sel:WORD_1 src1_sel:DWORD
	v_fma_f16 v5, v5, v48, v12
	v_fma_f16 v11, v35, v79, -v11
	v_fma_f16 v6, v6, v74, -v13
	v_add_f16_e32 v42, v43, v42
	v_add_f16_e32 v43, v17, v14
	;; [unrolled: 1-line block ×4, first 2 shown]
	v_fma_f16 v7, v7, v50, v10
	v_sub_f16_e32 v12, v3, v5
	v_fma_f16 v43, v43, -0.5, v41
	v_sub_f16_e32 v48, v4, v2
	v_sub_f16_e32 v49, v6, v11
	v_fma_f16 v19, v19, -0.5, v41
	v_sub_f16_e32 v10, v1, v7
	v_add_f16_e32 v27, v25, v22
	v_add_f16_e32 v9, v6, v4
	v_fma_f16 v44, v12, s11, v43
	v_add_f16_e32 v48, v49, v48
	v_add_f16_e32 v49, v11, v2
	v_fma_f16 v43, v12, s8, v43
	v_fma_f16 v20, v10, s8, v19
	v_fma_f16 v27, v27, -0.5, v26
	v_sub_f16_e32 v28, v2, v11
	v_fma_f16 v9, v9, -0.5, v0
	v_fma_f16 v44, v10, s9, v44
	v_sub_f16_e32 v45, v22, v21
	v_sub_f16_e32 v46, v25, v24
	v_fma_f16 v49, v49, -0.5, v0
	v_fma_f16 v43, v10, s12, v43
	v_fma_f16 v10, v10, s11, v19
	v_add_f16_e32 v0, v2, v0
	v_fma_f16 v20, v12, s9, v20
	v_fma_f16 v29, v28, s11, v27
	v_sub_f16_e32 v13, v4, v6
	v_add_f16_e32 v45, v46, v45
	v_add_f16_e32 v46, v24, v21
	v_fma_f16 v10, v12, s12, v10
	v_fma_f16 v12, v28, s8, v27
	v_add_f16_e32 v0, v4, v0
	v_fma_f16 v29, v13, s12, v29
	v_sub_f16_e32 v30, v2, v4
	v_sub_f16_e32 v31, v11, v6
	v_fma_f16 v46, v46, -0.5, v26
	v_fma_f16 v12, v13, s9, v12
	v_add_f16_e32 v0, v6, v0
	v_sub_f16_e32 v4, v1, v3
	v_sub_f16_e32 v6, v7, v5
	v_fma_f16 v29, v23, s10, v29
	v_add_f16_e32 v30, v31, v30
	v_sub_f16_e32 v31, v21, v24
	v_fma_f16 v44, v42, s10, v44
	v_fma_f16 v47, v13, s8, v46
	v_fma_f16 v42, v42, s10, v43
	v_fma_f16 v43, v13, s11, v46
	v_fma_f16 v12, v23, s10, v12
	v_add_f16_e32 v4, v6, v4
	v_add_f16_e32 v6, v5, v3
	v_sub_f16_e32 v23, v3, v1
	v_sub_f16_e32 v27, v5, v7
	v_fma_f16 v35, v31, s8, v9
	v_sub_f16_e32 v38, v22, v25
	v_fma_f16 v47, v28, s12, v47
	v_fma_f16 v43, v28, s9, v43
	;; [unrolled: 1-line block ×3, first 2 shown]
	v_add_f16_e32 v19, v14, v41
	v_add_f16_e32 v0, v11, v0
	v_fma_f16 v6, v6, -0.5, v8
	v_sub_f16_e32 v11, v14, v17
	v_add_f16_e32 v23, v27, v23
	v_add_f16_e32 v27, v7, v1
	v_add_f16_e32 v1, v1, v8
	v_fma_f16 v35, v38, s9, v35
	v_fma_f16 v47, v45, s10, v47
	;; [unrolled: 1-line block ×6, first 2 shown]
	v_add_f16_e32 v19, v15, v19
	v_fma_f16 v14, v11, s11, v6
	v_sub_f16_e32 v15, v15, v18
	v_fma_f16 v27, v27, -0.5, v8
	v_fma_f16 v6, v11, s8, v6
	v_add_f16_e32 v1, v3, v1
	v_add_f16_e32 v3, v21, v26
	v_fma_f16 v35, v30, s10, v35
	v_fma_f16 v50, v31, s9, v50
	;; [unrolled: 1-line block ×4, first 2 shown]
	v_add_f16_e32 v19, v18, v19
	v_fma_f16 v14, v15, s12, v14
	v_fma_f16 v28, v15, s8, v27
	;; [unrolled: 1-line block ×4, first 2 shown]
	v_add_f16_e32 v3, v22, v3
	v_mul_f16_e32 v39, 0xba79, v35
	v_fma_f16 v50, v48, s10, v50
	v_fma_f16 v45, v48, s10, v45
	v_mul_f16_e32 v13, 0x3a79, v9
	v_add_f16_e32 v19, v17, v19
	v_fma_f16 v14, v4, s10, v14
	v_mul_f16_e32 v17, 0xb8b4, v35
	v_fma_f16 v28, v11, s12, v28
	v_fma_f16 v27, v11, s9, v27
	;; [unrolled: 1-line block ×3, first 2 shown]
	v_mul_f16_e32 v6, 0xb8b4, v9
	v_add_f16_e32 v1, v5, v1
	v_add_f16_e32 v3, v25, v3
	v_fma_f16 v39, v29, s12, v39
	v_mul_f16_e32 v51, 0xb4f2, v50
	v_mul_f16_e32 v46, 0x34f2, v45
	v_fma_f16 v10, v16, s10, v10
	v_fma_f16 v13, v12, s12, v13
	;; [unrolled: 1-line block ×4, first 2 shown]
	v_mul_f16_e32 v29, 0xbb9c, v50
	v_fma_f16 v23, v23, s10, v27
	v_mul_f16_e32 v27, 0xbb9c, v45
	v_fma_f16 v6, v12, s13, v6
	v_add_f16_e32 v1, v7, v1
	v_add_f16_e32 v3, v24, v3
	v_fma_f16 v20, v16, s10, v20
	v_fma_f16 v51, v47, s11, v51
	;; [unrolled: 1-line block ×3, first 2 shown]
	v_sub_f16_e32 v16, v10, v13
	v_sub_f16_e32 v2, v19, v0
	v_fma_f16 v29, v47, s14, v29
	v_fma_f16 v27, v43, s10, v27
	v_sub_f16_e32 v9, v4, v6
	v_sub_f16_e32 v5, v1, v3
	v_add_f16_e32 v10, v10, v13
	v_add_f16_e32 v0, v19, v0
	;; [unrolled: 1-line block ×4, first 2 shown]
	v_sub_f16_e32 v18, v14, v17
	v_add_f16_e32 v8, v44, v51
	v_add_f16_e32 v11, v42, v46
	;; [unrolled: 1-line block ×5, first 2 shown]
	v_pack_b32_f16 v0, v1, v0
	v_pack_b32_f16 v1, v4, v10
	v_add_u32_e32 v3, 0x100, v37
	v_add_f16_e32 v7, v20, v39
	ds_write2_b32 v3, v0, v1 offset0:36 offset1:196
	v_pack_b32_f16 v0, v14, v11
	v_pack_b32_f16 v1, v13, v8
	v_add_u32_e32 v3, 0x600, v37
	v_sub_f16_e32 v48, v42, v46
	v_sub_f16_e32 v31, v23, v27
	ds_write2_b32 v3, v0, v1 offset0:36 offset1:196
	v_pack_b32_f16 v0, v12, v7
	v_pack_b32_f16 v1, v5, v2
	v_add_u32_e32 v2, 0xb00, v37
	v_sub_f16_e32 v40, v20, v39
	v_sub_f16_e32 v52, v44, v51
	;; [unrolled: 1-line block ×3, first 2 shown]
	ds_write2_b32 v2, v0, v1 offset0:36 offset1:196
	v_pack_b32_f16 v0, v9, v16
	v_pack_b32_f16 v1, v31, v48
	v_add_u32_e32 v2, 0x1000, v37
	ds_write2_b32 v2, v0, v1 offset0:36 offset1:196
	v_pack_b32_f16 v0, v30, v52
	v_pack_b32_f16 v1, v18, v40
	v_add_u32_e32 v2, 0x1500, v37
	ds_write2_b32 v2, v0, v1 offset0:36 offset1:196
.LBB0_21:
	s_or_b64 exec, exec, s[0:1]
	s_waitcnt lgkmcnt(0)
	s_barrier
	ds_read2_b32 v[4:5], v37 offset1:160
	v_mad_u64_u32 v[6:7], s[0:1], s6, v36, 0
	v_mov_b32_e32 v2, v7
	s_movk_i32 s14, 0x1ff
	s_waitcnt lgkmcnt(0)
	v_lshrrev_b32_e32 v8, 16, v4
	v_mul_f16_sdwa v3, v69, v8 dst_sel:DWORD dst_unused:UNUSED_PAD src0_sel:WORD_1 src1_sel:DWORD
	v_fma_f16 v3, v69, v4, v3
	v_cvt_f32_f16_e32 v9, v3
	v_mad_u64_u32 v[2:3], s[0:1], s7, v36, v[2:3]
	s_mov_b32 s6, 0x47ae147b
	v_mov_b32_e32 v7, v2
	v_cvt_f64_f32_e32 v[2:3], v9
	s_mov_b32 s7, 0x3f447ae1
	v_mul_f64 v[2:3], v[2:3], s[6:7]
	v_and_or_b32 v2, v3, s14, v2
	v_cmp_ne_u32_e64 s[0:1], 0, v2
	v_lshrrev_b32_e32 v9, 8, v3
	s_movk_i32 s12, 0xffe
	v_cndmask_b32_e64 v2, 0, 1, s[0:1]
	v_bfe_u32 v10, v3, 20, 11
	v_and_or_b32 v9, v9, s12, v2
	v_sub_u32_e32 v11, 0x3f1, v10
	v_or_b32_e32 v2, 0x1000, v9
	v_med3_i32 v11, v11, 0, 13
	v_lshrrev_b32_e32 v12, v11, v2
	v_lshlrev_b32_e32 v11, v11, v12
	v_cmp_ne_u32_e64 s[0:1], v11, v2
	v_add_u32_e32 v10, 0xfffffc10, v10
	v_lshl_or_b32 v11, v10, 12, v9
	v_cndmask_b32_e64 v2, 0, 1, s[0:1]
	v_or_b32_e32 v2, v12, v2
	v_cmp_gt_i32_e64 s[0:1], 1, v10
	v_mov_b32_e32 v0, s2
	v_mov_b32_e32 v1, s3
	v_cndmask_b32_e64 v2, v11, v2, s[0:1]
	v_and_b32_e32 v11, 7, v2
	v_cmp_lt_i32_e64 s[0:1], 5, v11
	v_cmp_eq_u32_e64 s[2:3], 3, v11
	v_lshrrev_b32_e32 v2, 2, v2
	s_or_b64 s[0:1], s[2:3], s[0:1]
	v_mul_f16_sdwa v4, v69, v4 dst_sel:DWORD dst_unused:UNUSED_PAD src0_sel:WORD_1 src1_sel:DWORD
	v_addc_co_u32_e64 v11, s[0:1], 0, v2, s[0:1]
	v_fma_f16 v4, v69, v8, -v4
	v_mov_b32_e32 v2, 0x7c00
	v_cmp_gt_i32_e64 s[0:1], 31, v10
	v_cvt_f32_f16_e32 v4, v4
	s_movk_i32 s10, 0x40f
	v_cndmask_b32_e64 v11, v2, v11, s[0:1]
	v_cmp_ne_u32_e64 s[0:1], 0, v9
	s_mov_b32 s11, 0x8000
	v_and_b32_sdwa v3, v3, s11 dst_sel:DWORD dst_unused:UNUSED_PAD src0_sel:WORD_1 src1_sel:DWORD
	v_cndmask_b32_e64 v9, 0, 1, s[0:1]
	v_lshl_or_b32 v9, v9, 9, v2
	v_cmp_eq_u32_e64 s[0:1], s10, v10
	s_mov_b32 s13, 0xffff
	v_lshl_add_u64 v[0:1], v[6:7], 2, v[0:1]
	v_cndmask_b32_e64 v12, v11, v9, s[0:1]
	v_cvt_f64_f32_e32 v[8:9], v4
	v_mul_f64 v[8:9], v[8:9], s[6:7]
	v_and_or_b32 v4, v9, s14, v8
	v_cmp_ne_u32_e64 s[0:1], 0, v4
	v_lshrrev_b32_e32 v8, 8, v9
	v_bfe_u32 v10, v9, 20, 11
	v_cndmask_b32_e64 v4, 0, 1, s[0:1]
	v_and_or_b32 v4, v8, s12, v4
	v_sub_u32_e32 v11, 0x3f1, v10
	v_or_b32_e32 v8, 0x1000, v4
	v_med3_i32 v11, v11, 0, 13
	v_lshrrev_b32_e32 v13, v11, v8
	v_lshlrev_b32_e32 v11, v11, v13
	v_cmp_ne_u32_e64 s[0:1], v11, v8
	v_add_u32_e32 v10, 0xfffffc10, v10
	v_lshl_or_b32 v11, v10, 12, v4
	v_cndmask_b32_e64 v8, 0, 1, s[0:1]
	v_or_b32_e32 v8, v13, v8
	v_cmp_gt_i32_e64 s[0:1], 1, v10
	v_bitop3_b32 v3, v3, s13, v12 bitop3:0xc8
	s_mul_i32 s16, s5, 0x500
	v_cndmask_b32_e64 v8, v11, v8, s[0:1]
	v_and_b32_e32 v11, 7, v8
	v_cmp_lt_i32_e64 s[0:1], 5, v11
	v_cmp_eq_u32_e64 s[2:3], 3, v11
	v_lshrrev_b32_e32 v8, 2, v8
	s_or_b64 s[0:1], s[2:3], s[0:1]
	v_addc_co_u32_e64 v8, s[0:1], 0, v8, s[0:1]
	v_cmp_gt_i32_e64 s[0:1], 31, v10
	s_movk_i32 s15, 0x1000
	s_nop 0
	v_cndmask_b32_e64 v8, v2, v8, s[0:1]
	v_cmp_ne_u32_e64 s[0:1], 0, v4
	s_nop 1
	v_cndmask_b32_e64 v4, 0, 1, s[0:1]
	v_lshl_or_b32 v4, v4, 9, v2
	v_cmp_eq_u32_e64 s[0:1], s10, v10
	s_nop 1
	v_cndmask_b32_e64 v4, v8, v4, s[0:1]
	v_lshrrev_b32_e32 v8, 16, v9
	v_and_or_b32 v13, v8, s11, v4
	v_mad_u64_u32 v[8:9], s[0:1], s4, v34, 0
	v_mov_b32_e32 v4, v9
	v_mad_u64_u32 v[10:11], s[0:1], s5, v34, v[4:5]
	v_lshrrev_b32_e32 v4, 16, v5
	v_mov_b32_e32 v9, v10
	v_mul_f16_sdwa v10, v68, v4 dst_sel:DWORD dst_unused:UNUSED_PAD src0_sel:WORD_1 src1_sel:DWORD
	v_fma_f16 v10, v68, v5, v10
	v_cvt_f32_f16_e32 v10, v10
	v_lshl_add_u64 v[6:7], v[8:9], 2, v[0:1]
	v_lshl_or_b32 v3, v13, 16, v3
	global_store_dword v[6:7], v3, off
	v_cvt_f64_f32_e32 v[8:9], v10
	v_mul_f64 v[8:9], v[8:9], s[6:7]
	v_and_or_b32 v3, v9, s14, v8
	v_cmp_ne_u32_e64 s[0:1], 0, v3
	v_lshrrev_b32_e32 v8, 8, v9
	v_bfe_u32 v10, v9, 20, 11
	v_cndmask_b32_e64 v3, 0, 1, s[0:1]
	v_and_or_b32 v3, v8, s12, v3
	v_sub_u32_e32 v11, 0x3f1, v10
	v_or_b32_e32 v8, 0x1000, v3
	v_med3_i32 v11, v11, 0, 13
	v_lshrrev_b32_e32 v12, v11, v8
	v_lshlrev_b32_e32 v11, v11, v12
	v_cmp_ne_u32_e64 s[0:1], v11, v8
	v_add_u32_e32 v10, 0xfffffc10, v10
	v_lshl_or_b32 v11, v10, 12, v3
	v_cndmask_b32_e64 v8, 0, 1, s[0:1]
	v_or_b32_e32 v8, v12, v8
	v_cmp_gt_i32_e64 s[0:1], 1, v10
	v_mul_f16_sdwa v5, v68, v5 dst_sel:DWORD dst_unused:UNUSED_PAD src0_sel:WORD_1 src1_sel:DWORD
	v_fma_f16 v4, v68, v4, -v5
	v_cndmask_b32_e64 v8, v11, v8, s[0:1]
	v_and_b32_e32 v11, 7, v8
	v_cmp_lt_i32_e64 s[0:1], 5, v11
	v_cmp_eq_u32_e64 s[2:3], 3, v11
	v_cvt_f32_f16_e32 v4, v4
	v_lshrrev_b32_e32 v8, 2, v8
	s_or_b64 s[0:1], s[2:3], s[0:1]
	v_addc_co_u32_e64 v8, s[0:1], 0, v8, s[0:1]
	v_cmp_gt_i32_e64 s[0:1], 31, v10
	v_cvt_f64_f32_e32 v[4:5], v4
	v_mul_f64 v[4:5], v[4:5], s[6:7]
	v_cndmask_b32_e64 v8, v2, v8, s[0:1]
	v_cmp_ne_u32_e64 s[0:1], 0, v3
	v_and_or_b32 v4, v5, s14, v4
	s_nop 0
	v_cndmask_b32_e64 v3, 0, 1, s[0:1]
	v_lshl_or_b32 v3, v3, 9, v2
	v_cmp_eq_u32_e64 s[0:1], s10, v10
	v_bfe_u32 v10, v5, 20, 11
	v_sub_u32_e32 v11, 0x3f1, v10
	v_cndmask_b32_e64 v3, v8, v3, s[0:1]
	v_cmp_ne_u32_e64 s[0:1], 0, v4
	v_and_b32_sdwa v8, v9, s11 dst_sel:DWORD dst_unused:UNUSED_PAD src0_sel:WORD_1 src1_sel:DWORD
	v_lshrrev_b32_e32 v9, 8, v5
	v_cndmask_b32_e64 v4, 0, 1, s[0:1]
	v_and_or_b32 v4, v9, s12, v4
	v_or_b32_e32 v9, 0x1000, v4
	v_med3_i32 v11, v11, 0, 13
	v_lshrrev_b32_e32 v12, v11, v9
	v_lshlrev_b32_e32 v11, v11, v12
	v_cmp_ne_u32_e64 s[0:1], v11, v9
	v_add_u32_e32 v10, 0xfffffc10, v10
	v_lshl_or_b32 v11, v10, 12, v4
	v_cndmask_b32_e64 v9, 0, 1, s[0:1]
	v_or_b32_e32 v9, v12, v9
	v_cmp_gt_i32_e64 s[0:1], 1, v10
	v_lshrrev_b32_e32 v5, 16, v5
	v_bitop3_b32 v3, v8, s13, v3 bitop3:0xc8
	v_cndmask_b32_e64 v9, v11, v9, s[0:1]
	v_and_b32_e32 v11, 7, v9
	v_cmp_lt_i32_e64 s[0:1], 5, v11
	v_cmp_eq_u32_e64 s[2:3], 3, v11
	v_lshrrev_b32_e32 v9, 2, v9
	s_or_b64 s[0:1], s[2:3], s[0:1]
	v_addc_co_u32_e64 v9, s[0:1], 0, v9, s[0:1]
	v_cmp_gt_i32_e64 s[0:1], 31, v10
	s_nop 1
	v_cndmask_b32_e64 v9, v2, v9, s[0:1]
	v_cmp_ne_u32_e64 s[0:1], 0, v4
	s_nop 1
	v_cndmask_b32_e64 v4, 0, 1, s[0:1]
	v_lshl_or_b32 v4, v4, 9, v2
	v_cmp_eq_u32_e64 s[0:1], s10, v10
	s_nop 1
	v_cndmask_b32_e64 v4, v9, v4, s[0:1]
	v_and_or_b32 v9, v5, s11, v4
	v_add_u32_e32 v4, 0x400, v37
	ds_read2_b32 v[4:5], v4 offset0:64 offset1:224
	s_mul_i32 s0, s5, 0xa0
	s_mul_hi_u32 s1, s4, 0xa0
	s_add_i32 s1, s1, s0
	s_mul_i32 s0, s4, 0xa0
	s_waitcnt lgkmcnt(0)
	v_lshrrev_b32_e32 v10, 16, v4
	v_mul_f16_sdwa v8, v67, v10 dst_sel:DWORD dst_unused:UNUSED_PAD src0_sel:WORD_1 src1_sel:DWORD
	v_fma_f16 v8, v67, v4, v8
	v_cvt_f32_f16_e32 v8, v8
	v_lshl_or_b32 v3, v9, 16, v3
	s_lshl_b64 s[8:9], s[0:1], 2
	v_lshl_add_u64 v[6:7], v[6:7], 0, s[8:9]
	v_cvt_f64_f32_e32 v[8:9], v8
	v_mul_f64 v[8:9], v[8:9], s[6:7]
	global_store_dword v[6:7], v3, off
	v_and_or_b32 v3, v9, s14, v8
	v_cmp_ne_u32_e64 s[0:1], 0, v3
	v_lshrrev_b32_e32 v8, 8, v9
	v_bfe_u32 v11, v9, 20, 11
	v_cndmask_b32_e64 v3, 0, 1, s[0:1]
	v_and_or_b32 v3, v8, s12, v3
	v_sub_u32_e32 v12, 0x3f1, v11
	v_or_b32_e32 v8, 0x1000, v3
	v_med3_i32 v12, v12, 0, 13
	v_lshrrev_b32_e32 v13, v12, v8
	v_lshlrev_b32_e32 v12, v12, v13
	v_cmp_ne_u32_e64 s[0:1], v12, v8
	v_add_u32_e32 v11, 0xfffffc10, v11
	v_lshl_or_b32 v12, v11, 12, v3
	v_cndmask_b32_e64 v8, 0, 1, s[0:1]
	v_or_b32_e32 v8, v13, v8
	v_cmp_gt_i32_e64 s[0:1], 1, v11
	v_mul_f16_sdwa v4, v67, v4 dst_sel:DWORD dst_unused:UNUSED_PAD src0_sel:WORD_1 src1_sel:DWORD
	v_fma_f16 v4, v67, v10, -v4
	v_cndmask_b32_e64 v8, v12, v8, s[0:1]
	v_and_b32_e32 v12, 7, v8
	v_cmp_lt_i32_e64 s[0:1], 5, v12
	v_cmp_eq_u32_e64 s[2:3], 3, v12
	v_lshrrev_b32_e32 v8, 2, v8
	s_or_b64 s[0:1], s[2:3], s[0:1]
	v_addc_co_u32_e64 v8, s[0:1], 0, v8, s[0:1]
	v_cmp_gt_i32_e64 s[0:1], 31, v11
	v_cvt_f32_f16_e32 v4, v4
	v_and_b32_sdwa v10, v9, s11 dst_sel:DWORD dst_unused:UNUSED_PAD src0_sel:WORD_1 src1_sel:DWORD
	v_cndmask_b32_e64 v8, v2, v8, s[0:1]
	v_cmp_ne_u32_e64 s[0:1], 0, v3
	v_lshl_add_u64 v[6:7], v[6:7], 0, s[8:9]
	s_nop 0
	v_cndmask_b32_e64 v3, 0, 1, s[0:1]
	v_lshl_or_b32 v3, v3, 9, v2
	v_cmp_eq_u32_e64 s[0:1], s10, v11
	s_nop 1
	v_cndmask_b32_e64 v3, v8, v3, s[0:1]
	v_cvt_f64_f32_e32 v[8:9], v4
	v_mul_f64 v[8:9], v[8:9], s[6:7]
	v_and_or_b32 v4, v9, s14, v8
	v_cmp_ne_u32_e64 s[0:1], 0, v4
	v_lshrrev_b32_e32 v8, 8, v9
	v_bfe_u32 v11, v9, 20, 11
	v_cndmask_b32_e64 v4, 0, 1, s[0:1]
	v_and_or_b32 v4, v8, s12, v4
	v_sub_u32_e32 v12, 0x3f1, v11
	v_or_b32_e32 v8, 0x1000, v4
	v_med3_i32 v12, v12, 0, 13
	v_lshrrev_b32_e32 v13, v12, v8
	v_lshlrev_b32_e32 v12, v12, v13
	v_cmp_ne_u32_e64 s[0:1], v12, v8
	v_add_u32_e32 v11, 0xfffffc10, v11
	v_lshl_or_b32 v12, v11, 12, v4
	v_cndmask_b32_e64 v8, 0, 1, s[0:1]
	v_or_b32_e32 v8, v13, v8
	v_cmp_gt_i32_e64 s[0:1], 1, v11
	v_bitop3_b32 v3, v10, s13, v3 bitop3:0xc8
	v_lshrrev_b32_e32 v10, 16, v5
	v_cndmask_b32_e64 v8, v12, v8, s[0:1]
	v_and_b32_e32 v12, 7, v8
	v_cmp_lt_i32_e64 s[0:1], 5, v12
	v_cmp_eq_u32_e64 s[2:3], 3, v12
	v_lshrrev_b32_e32 v8, 2, v8
	s_or_b64 s[0:1], s[2:3], s[0:1]
	v_addc_co_u32_e64 v8, s[0:1], 0, v8, s[0:1]
	v_cmp_gt_i32_e64 s[0:1], 31, v11
	s_nop 1
	v_cndmask_b32_e64 v8, v2, v8, s[0:1]
	v_cmp_ne_u32_e64 s[0:1], 0, v4
	s_nop 1
	v_cndmask_b32_e64 v4, 0, 1, s[0:1]
	v_lshl_or_b32 v4, v4, 9, v2
	v_cmp_eq_u32_e64 s[0:1], s10, v11
	s_nop 1
	v_cndmask_b32_e64 v4, v8, v4, s[0:1]
	v_lshrrev_b32_e32 v8, 16, v9
	v_and_or_b32 v4, v8, s11, v4
	v_mul_f16_sdwa v8, v66, v10 dst_sel:DWORD dst_unused:UNUSED_PAD src0_sel:WORD_1 src1_sel:DWORD
	v_fma_f16 v8, v66, v5, v8
	v_cvt_f32_f16_e32 v8, v8
	v_lshl_or_b32 v3, v4, 16, v3
	global_store_dword v[6:7], v3, off
	v_mul_f16_sdwa v5, v66, v5 dst_sel:DWORD dst_unused:UNUSED_PAD src0_sel:WORD_1 src1_sel:DWORD
	v_cvt_f64_f32_e32 v[8:9], v8
	v_mul_f64 v[8:9], v[8:9], s[6:7]
	v_and_or_b32 v3, v9, s14, v8
	v_cmp_ne_u32_e64 s[0:1], 0, v3
	v_lshrrev_b32_e32 v4, 8, v9
	v_bfe_u32 v8, v9, 20, 11
	v_cndmask_b32_e64 v3, 0, 1, s[0:1]
	v_and_or_b32 v3, v4, s12, v3
	v_sub_u32_e32 v11, 0x3f1, v8
	v_or_b32_e32 v4, 0x1000, v3
	v_med3_i32 v11, v11, 0, 13
	v_lshrrev_b32_e32 v12, v11, v4
	v_lshlrev_b32_e32 v11, v11, v12
	v_cmp_ne_u32_e64 s[0:1], v11, v4
	v_add_u32_e32 v8, 0xfffffc10, v8
	v_lshl_or_b32 v11, v8, 12, v3
	v_cndmask_b32_e64 v4, 0, 1, s[0:1]
	v_or_b32_e32 v4, v12, v4
	v_cmp_gt_i32_e64 s[0:1], 1, v8
	v_fma_f16 v5, v66, v10, -v5
	v_cvt_f32_f16_e32 v5, v5
	v_cndmask_b32_e64 v4, v11, v4, s[0:1]
	v_and_b32_e32 v11, 7, v4
	v_cmp_lt_i32_e64 s[0:1], 5, v11
	v_cmp_eq_u32_e64 s[2:3], 3, v11
	v_lshrrev_b32_e32 v4, 2, v4
	s_or_b64 s[0:1], s[2:3], s[0:1]
	v_addc_co_u32_e64 v4, s[0:1], 0, v4, s[0:1]
	v_cmp_gt_i32_e64 s[0:1], 31, v8
	v_and_b32_sdwa v10, v9, s11 dst_sel:DWORD dst_unused:UNUSED_PAD src0_sel:WORD_1 src1_sel:DWORD
	s_nop 0
	v_cndmask_b32_e64 v4, v2, v4, s[0:1]
	v_cmp_ne_u32_e64 s[0:1], 0, v3
	s_nop 1
	v_cndmask_b32_e64 v3, 0, 1, s[0:1]
	v_lshl_or_b32 v3, v3, 9, v2
	v_cmp_eq_u32_e64 s[0:1], s10, v8
	s_nop 1
	v_cndmask_b32_e64 v3, v4, v3, s[0:1]
	v_cvt_f64_f32_e32 v[4:5], v5
	v_mul_f64 v[4:5], v[4:5], s[6:7]
	v_and_or_b32 v4, v5, s14, v4
	v_cmp_ne_u32_e64 s[0:1], 0, v4
	v_lshrrev_b32_e32 v8, 8, v5
	v_bfe_u32 v9, v5, 20, 11
	v_cndmask_b32_e64 v4, 0, 1, s[0:1]
	v_and_or_b32 v4, v8, s12, v4
	v_sub_u32_e32 v11, 0x3f1, v9
	v_or_b32_e32 v8, 0x1000, v4
	v_med3_i32 v11, v11, 0, 13
	v_lshrrev_b32_e32 v12, v11, v8
	v_lshlrev_b32_e32 v11, v11, v12
	v_cmp_ne_u32_e64 s[0:1], v11, v8
	v_add_u32_e32 v11, 0xfffffc10, v9
	v_lshl_or_b32 v9, v11, 12, v4
	v_cndmask_b32_e64 v8, 0, 1, s[0:1]
	v_or_b32_e32 v8, v12, v8
	v_cmp_gt_i32_e64 s[0:1], 1, v11
	v_lshrrev_b32_e32 v5, 16, v5
	v_bitop3_b32 v3, v10, s13, v3 bitop3:0xc8
	v_cndmask_b32_e64 v8, v9, v8, s[0:1]
	v_and_b32_e32 v9, 7, v8
	v_cmp_lt_i32_e64 s[0:1], 5, v9
	v_cmp_eq_u32_e64 s[2:3], 3, v9
	v_lshrrev_b32_e32 v8, 2, v8
	s_or_b64 s[0:1], s[2:3], s[0:1]
	v_addc_co_u32_e64 v8, s[0:1], 0, v8, s[0:1]
	v_cmp_gt_i32_e64 s[0:1], 31, v11
	s_nop 1
	v_cndmask_b32_e64 v12, v2, v8, s[0:1]
	v_add_u32_e32 v8, 0xa00, v37
	ds_read2_b32 v[8:9], v8 offset1:160
	v_cmp_ne_u32_e64 s[0:1], 0, v4
	s_waitcnt lgkmcnt(0)
	v_lshrrev_b32_e32 v10, 16, v8
	v_cndmask_b32_e64 v4, 0, 1, s[0:1]
	v_lshl_or_b32 v4, v4, 9, v2
	v_cmp_eq_u32_e64 s[0:1], s10, v11
	s_nop 1
	v_cndmask_b32_e64 v4, v12, v4, s[0:1]
	v_and_or_b32 v4, v5, s11, v4
	v_mul_f16_sdwa v5, v65, v10 dst_sel:DWORD dst_unused:UNUSED_PAD src0_sel:WORD_1 src1_sel:DWORD
	v_fma_f16 v5, v65, v8, v5
	v_cvt_f32_f16_e32 v11, v5
	v_lshl_or_b32 v3, v4, 16, v3
	v_lshl_add_u64 v[4:5], v[6:7], 0, s[8:9]
	global_store_dword v[4:5], v3, off
	v_cvt_f64_f32_e32 v[6:7], v11
	v_mul_f64 v[6:7], v[6:7], s[6:7]
	v_and_or_b32 v3, v7, s14, v6
	v_cmp_ne_u32_e64 s[0:1], 0, v3
	v_lshrrev_b32_e32 v6, 8, v7
	v_bfe_u32 v11, v7, 20, 11
	v_cndmask_b32_e64 v3, 0, 1, s[0:1]
	v_and_or_b32 v3, v6, s12, v3
	v_sub_u32_e32 v12, 0x3f1, v11
	v_or_b32_e32 v6, 0x1000, v3
	v_med3_i32 v12, v12, 0, 13
	v_lshrrev_b32_e32 v13, v12, v6
	v_lshlrev_b32_e32 v12, v12, v13
	v_cmp_ne_u32_e64 s[0:1], v12, v6
	v_add_u32_e32 v11, 0xfffffc10, v11
	v_lshl_or_b32 v12, v11, 12, v3
	v_cndmask_b32_e64 v6, 0, 1, s[0:1]
	v_or_b32_e32 v6, v13, v6
	v_cmp_gt_i32_e64 s[0:1], 1, v11
	v_mul_f16_sdwa v8, v65, v8 dst_sel:DWORD dst_unused:UNUSED_PAD src0_sel:WORD_1 src1_sel:DWORD
	v_fma_f16 v8, v65, v10, -v8
	v_cndmask_b32_e64 v6, v12, v6, s[0:1]
	v_and_b32_e32 v12, 7, v6
	v_cmp_lt_i32_e64 s[0:1], 5, v12
	v_cmp_eq_u32_e64 s[2:3], 3, v12
	v_lshrrev_b32_e32 v6, 2, v6
	s_or_b64 s[0:1], s[2:3], s[0:1]
	v_addc_co_u32_e64 v6, s[0:1], 0, v6, s[0:1]
	v_cmp_gt_i32_e64 s[0:1], 31, v11
	v_cvt_f32_f16_e32 v8, v8
	v_and_b32_sdwa v12, v7, s11 dst_sel:DWORD dst_unused:UNUSED_PAD src0_sel:WORD_1 src1_sel:DWORD
	v_cndmask_b32_e64 v6, v2, v6, s[0:1]
	v_cmp_ne_u32_e64 s[0:1], 0, v3
	s_nop 1
	v_cndmask_b32_e64 v3, 0, 1, s[0:1]
	v_lshl_or_b32 v3, v3, 9, v2
	v_cmp_eq_u32_e64 s[0:1], s10, v11
	s_nop 1
	v_cndmask_b32_e64 v3, v6, v3, s[0:1]
	v_cvt_f64_f32_e32 v[6:7], v8
	v_mul_f64 v[6:7], v[6:7], s[6:7]
	v_and_or_b32 v6, v7, s14, v6
	v_cmp_ne_u32_e64 s[0:1], 0, v6
	v_lshrrev_b32_e32 v8, 8, v7
	v_bfe_u32 v10, v7, 20, 11
	v_cndmask_b32_e64 v6, 0, 1, s[0:1]
	v_and_or_b32 v6, v8, s12, v6
	v_sub_u32_e32 v11, 0x3f1, v10
	v_or_b32_e32 v8, 0x1000, v6
	v_med3_i32 v11, v11, 0, 13
	v_lshrrev_b32_e32 v13, v11, v8
	v_lshlrev_b32_e32 v11, v11, v13
	v_cmp_ne_u32_e64 s[0:1], v11, v8
	v_add_u32_e32 v10, 0xfffffc10, v10
	v_lshl_or_b32 v11, v10, 12, v6
	v_cndmask_b32_e64 v8, 0, 1, s[0:1]
	v_or_b32_e32 v8, v13, v8
	v_cmp_gt_i32_e64 s[0:1], 1, v10
	v_lshrrev_b32_e32 v7, 16, v7
	v_bitop3_b32 v3, v12, s13, v3 bitop3:0xc8
	v_cndmask_b32_e64 v8, v11, v8, s[0:1]
	v_and_b32_e32 v11, 7, v8
	v_cmp_lt_i32_e64 s[0:1], 5, v11
	v_cmp_eq_u32_e64 s[2:3], 3, v11
	v_lshrrev_b32_e32 v8, 2, v8
	s_or_b64 s[0:1], s[2:3], s[0:1]
	v_addc_co_u32_e64 v8, s[0:1], 0, v8, s[0:1]
	v_cmp_gt_i32_e64 s[0:1], 31, v10
	s_nop 1
	v_cndmask_b32_e64 v8, v2, v8, s[0:1]
	v_cmp_ne_u32_e64 s[0:1], 0, v6
	s_nop 1
	v_cndmask_b32_e64 v6, 0, 1, s[0:1]
	v_lshl_or_b32 v6, v6, 9, v2
	v_cmp_eq_u32_e64 s[0:1], s10, v10
	s_nop 1
	v_cndmask_b32_e64 v6, v8, v6, s[0:1]
	v_and_or_b32 v13, v7, s11, v6
	v_mad_u64_u32 v[6:7], s[0:1], s4, v64, 0
	v_mov_b32_e32 v8, v7
	v_mad_u64_u32 v[10:11], s[0:1], s5, v64, v[8:9]
	v_lshrrev_b32_e32 v8, 16, v9
	v_mov_b32_e32 v7, v10
	v_mul_f16_sdwa v10, v63, v8 dst_sel:DWORD dst_unused:UNUSED_PAD src0_sel:WORD_1 src1_sel:DWORD
	v_fma_f16 v10, v63, v9, v10
	v_cvt_f32_f16_e32 v10, v10
	v_lshl_or_b32 v3, v13, 16, v3
	v_lshl_add_u64 v[6:7], v[6:7], 2, v[0:1]
	global_store_dword v[6:7], v3, off
	v_cvt_f64_f32_e32 v[6:7], v10
	v_mul_f64 v[6:7], v[6:7], s[6:7]
	v_and_or_b32 v3, v7, s14, v6
	v_cmp_ne_u32_e64 s[0:1], 0, v3
	v_lshrrev_b32_e32 v6, 8, v7
	v_bfe_u32 v10, v7, 20, 11
	v_cndmask_b32_e64 v3, 0, 1, s[0:1]
	v_and_or_b32 v3, v6, s12, v3
	v_sub_u32_e32 v11, 0x3f1, v10
	v_or_b32_e32 v6, 0x1000, v3
	v_med3_i32 v11, v11, 0, 13
	v_lshrrev_b32_e32 v12, v11, v6
	v_lshlrev_b32_e32 v11, v11, v12
	v_cmp_ne_u32_e64 s[0:1], v11, v6
	v_add_u32_e32 v10, 0xfffffc10, v10
	v_lshl_or_b32 v11, v10, 12, v3
	v_cndmask_b32_e64 v6, 0, 1, s[0:1]
	v_or_b32_e32 v6, v12, v6
	v_cmp_gt_i32_e64 s[0:1], 1, v10
	v_mul_f16_sdwa v9, v63, v9 dst_sel:DWORD dst_unused:UNUSED_PAD src0_sel:WORD_1 src1_sel:DWORD
	v_fma_f16 v8, v63, v8, -v9
	v_cndmask_b32_e64 v6, v11, v6, s[0:1]
	v_and_b32_e32 v11, 7, v6
	v_cmp_lt_i32_e64 s[0:1], 5, v11
	v_cmp_eq_u32_e64 s[2:3], 3, v11
	v_lshrrev_b32_e32 v6, 2, v6
	s_or_b64 s[0:1], s[2:3], s[0:1]
	v_addc_co_u32_e64 v6, s[0:1], 0, v6, s[0:1]
	v_cmp_gt_i32_e64 s[0:1], 31, v10
	v_cvt_f32_f16_e32 v8, v8
	v_and_b32_sdwa v9, v7, s11 dst_sel:DWORD dst_unused:UNUSED_PAD src0_sel:WORD_1 src1_sel:DWORD
	v_cndmask_b32_e64 v6, v2, v6, s[0:1]
	v_cmp_ne_u32_e64 s[0:1], 0, v3
	s_nop 1
	v_cndmask_b32_e64 v3, 0, 1, s[0:1]
	v_lshl_or_b32 v3, v3, 9, v2
	v_cmp_eq_u32_e64 s[0:1], s10, v10
	s_nop 1
	v_cndmask_b32_e64 v3, v6, v3, s[0:1]
	v_cvt_f64_f32_e32 v[6:7], v8
	v_mul_f64 v[6:7], v[6:7], s[6:7]
	v_and_or_b32 v6, v7, s14, v6
	v_cmp_ne_u32_e64 s[0:1], 0, v6
	v_lshrrev_b32_e32 v8, 8, v7
	v_bfe_u32 v10, v7, 20, 11
	v_cndmask_b32_e64 v6, 0, 1, s[0:1]
	v_and_or_b32 v6, v8, s12, v6
	v_sub_u32_e32 v11, 0x3f1, v10
	v_or_b32_e32 v8, 0x1000, v6
	v_med3_i32 v11, v11, 0, 13
	v_lshrrev_b32_e32 v12, v11, v8
	v_lshlrev_b32_e32 v11, v11, v12
	v_cmp_ne_u32_e64 s[0:1], v11, v8
	v_add_u32_e32 v10, 0xfffffc10, v10
	v_lshl_or_b32 v11, v10, 12, v6
	v_cndmask_b32_e64 v8, 0, 1, s[0:1]
	v_or_b32_e32 v8, v12, v8
	v_cmp_gt_i32_e64 s[0:1], 1, v10
	v_lshrrev_b32_e32 v7, 16, v7
	v_bitop3_b32 v3, v9, s13, v3 bitop3:0xc8
	v_cndmask_b32_e64 v8, v11, v8, s[0:1]
	v_and_b32_e32 v11, 7, v8
	v_cmp_lt_i32_e64 s[0:1], 5, v11
	v_cmp_eq_u32_e64 s[2:3], 3, v11
	v_lshrrev_b32_e32 v8, 2, v8
	s_or_b64 s[0:1], s[2:3], s[0:1]
	v_addc_co_u32_e64 v8, s[0:1], 0, v8, s[0:1]
	v_cmp_gt_i32_e64 s[0:1], 31, v10
	v_mov_b32_e32 v12, 0x500
	s_nop 0
	v_cndmask_b32_e64 v8, v2, v8, s[0:1]
	v_cmp_ne_u32_e64 s[0:1], 0, v6
	s_nop 1
	v_cndmask_b32_e64 v6, 0, 1, s[0:1]
	v_lshl_or_b32 v6, v6, 9, v2
	v_cmp_eq_u32_e64 s[0:1], s10, v10
	s_nop 1
	v_cndmask_b32_e64 v6, v8, v6, s[0:1]
	v_and_or_b32 v8, v7, s11, v6
	v_add_u32_e32 v6, 0xe00, v37
	ds_read2_b32 v[6:7], v6 offset0:64 offset1:224
	v_lshl_or_b32 v3, v8, 16, v3
	v_mad_u64_u32 v[4:5], s[0:1], s4, v12, v[4:5]
	v_add_u32_e32 v5, s16, v5
	s_waitcnt lgkmcnt(0)
	v_lshrrev_b32_e32 v10, 16, v6
	v_mul_f16_sdwa v8, v62, v10 dst_sel:DWORD dst_unused:UNUSED_PAD src0_sel:WORD_1 src1_sel:DWORD
	v_fma_f16 v8, v62, v6, v8
	v_cvt_f32_f16_e32 v8, v8
	global_store_dword v[4:5], v3, off
	v_mul_f16_sdwa v6, v62, v6 dst_sel:DWORD dst_unused:UNUSED_PAD src0_sel:WORD_1 src1_sel:DWORD
	v_fma_f16 v6, v62, v10, -v6
	v_cvt_f64_f32_e32 v[8:9], v8
	v_mul_f64 v[8:9], v[8:9], s[6:7]
	v_and_or_b32 v3, v9, s14, v8
	v_cmp_ne_u32_e64 s[0:1], 0, v3
	v_lshrrev_b32_e32 v8, 8, v9
	v_bfe_u32 v11, v9, 20, 11
	v_cndmask_b32_e64 v3, 0, 1, s[0:1]
	v_and_or_b32 v3, v8, s12, v3
	v_sub_u32_e32 v13, 0x3f1, v11
	v_or_b32_e32 v8, 0x1000, v3
	v_med3_i32 v13, v13, 0, 13
	v_lshrrev_b32_e32 v14, v13, v8
	v_lshlrev_b32_e32 v13, v13, v14
	v_cmp_ne_u32_e64 s[0:1], v13, v8
	v_add_u32_e32 v11, 0xfffffc10, v11
	v_lshl_or_b32 v13, v11, 12, v3
	v_cndmask_b32_e64 v8, 0, 1, s[0:1]
	v_or_b32_e32 v8, v14, v8
	v_cmp_gt_i32_e64 s[0:1], 1, v11
	v_cvt_f32_f16_e32 v6, v6
	v_and_b32_sdwa v10, v9, s11 dst_sel:DWORD dst_unused:UNUSED_PAD src0_sel:WORD_1 src1_sel:DWORD
	v_cndmask_b32_e64 v8, v13, v8, s[0:1]
	v_and_b32_e32 v13, 7, v8
	v_cmp_lt_i32_e64 s[0:1], 5, v13
	v_cmp_eq_u32_e64 s[2:3], 3, v13
	v_lshrrev_b32_e32 v8, 2, v8
	s_or_b64 s[0:1], s[2:3], s[0:1]
	v_addc_co_u32_e64 v8, s[0:1], 0, v8, s[0:1]
	v_cmp_gt_i32_e64 s[0:1], 31, v11
	v_lshl_add_u64 v[4:5], v[4:5], 0, s[8:9]
	s_nop 0
	v_cndmask_b32_e64 v8, v2, v8, s[0:1]
	v_cmp_ne_u32_e64 s[0:1], 0, v3
	s_nop 1
	v_cndmask_b32_e64 v3, 0, 1, s[0:1]
	v_lshl_or_b32 v3, v3, 9, v2
	v_cmp_eq_u32_e64 s[0:1], s10, v11
	s_nop 1
	v_cndmask_b32_e64 v3, v8, v3, s[0:1]
	v_cvt_f64_f32_e32 v[8:9], v6
	v_mul_f64 v[8:9], v[8:9], s[6:7]
	v_and_or_b32 v6, v9, s14, v8
	v_cmp_ne_u32_e64 s[0:1], 0, v6
	v_lshrrev_b32_e32 v8, 8, v9
	v_bfe_u32 v11, v9, 20, 11
	v_cndmask_b32_e64 v6, 0, 1, s[0:1]
	v_and_or_b32 v6, v8, s12, v6
	v_sub_u32_e32 v13, 0x3f1, v11
	v_or_b32_e32 v8, 0x1000, v6
	v_med3_i32 v13, v13, 0, 13
	v_lshrrev_b32_e32 v14, v13, v8
	v_lshlrev_b32_e32 v13, v13, v14
	v_cmp_ne_u32_e64 s[0:1], v13, v8
	v_add_u32_e32 v11, 0xfffffc10, v11
	v_lshl_or_b32 v13, v11, 12, v6
	v_cndmask_b32_e64 v8, 0, 1, s[0:1]
	v_or_b32_e32 v8, v14, v8
	v_cmp_gt_i32_e64 s[0:1], 1, v11
	v_bitop3_b32 v3, v10, s13, v3 bitop3:0xc8
	v_lshrrev_b32_e32 v10, 16, v7
	v_cndmask_b32_e64 v8, v13, v8, s[0:1]
	v_and_b32_e32 v13, 7, v8
	v_cmp_lt_i32_e64 s[0:1], 5, v13
	v_cmp_eq_u32_e64 s[2:3], 3, v13
	v_lshrrev_b32_e32 v8, 2, v8
	s_or_b64 s[0:1], s[2:3], s[0:1]
	v_addc_co_u32_e64 v8, s[0:1], 0, v8, s[0:1]
	v_cmp_gt_i32_e64 s[0:1], 31, v11
	s_nop 1
	v_cndmask_b32_e64 v8, v2, v8, s[0:1]
	v_cmp_ne_u32_e64 s[0:1], 0, v6
	s_nop 1
	v_cndmask_b32_e64 v6, 0, 1, s[0:1]
	v_lshl_or_b32 v6, v6, 9, v2
	v_cmp_eq_u32_e64 s[0:1], s10, v11
	s_nop 1
	v_cndmask_b32_e64 v6, v8, v6, s[0:1]
	v_lshrrev_b32_e32 v8, 16, v9
	v_and_or_b32 v6, v8, s11, v6
	v_mul_f16_sdwa v8, v61, v10 dst_sel:DWORD dst_unused:UNUSED_PAD src0_sel:WORD_1 src1_sel:DWORD
	v_fma_f16 v8, v61, v7, v8
	v_cvt_f32_f16_e32 v8, v8
	v_lshl_or_b32 v3, v6, 16, v3
	global_store_dword v[4:5], v3, off
	v_mul_f16_sdwa v7, v61, v7 dst_sel:DWORD dst_unused:UNUSED_PAD src0_sel:WORD_1 src1_sel:DWORD
	v_cvt_f64_f32_e32 v[8:9], v8
	v_mul_f64 v[8:9], v[8:9], s[6:7]
	v_and_or_b32 v3, v9, s14, v8
	v_cmp_ne_u32_e64 s[0:1], 0, v3
	v_lshrrev_b32_e32 v6, 8, v9
	v_bfe_u32 v8, v9, 20, 11
	v_cndmask_b32_e64 v3, 0, 1, s[0:1]
	v_and_or_b32 v3, v6, s12, v3
	v_sub_u32_e32 v11, 0x3f1, v8
	v_or_b32_e32 v6, 0x1000, v3
	v_med3_i32 v11, v11, 0, 13
	v_lshrrev_b32_e32 v13, v11, v6
	v_lshlrev_b32_e32 v11, v11, v13
	v_cmp_ne_u32_e64 s[0:1], v11, v6
	v_add_u32_e32 v8, 0xfffffc10, v8
	v_lshl_or_b32 v11, v8, 12, v3
	v_cndmask_b32_e64 v6, 0, 1, s[0:1]
	v_or_b32_e32 v6, v13, v6
	v_cmp_gt_i32_e64 s[0:1], 1, v8
	v_fma_f16 v7, v61, v10, -v7
	v_cvt_f32_f16_e32 v7, v7
	v_cndmask_b32_e64 v6, v11, v6, s[0:1]
	v_and_b32_e32 v11, 7, v6
	v_cmp_lt_i32_e64 s[0:1], 5, v11
	v_cmp_eq_u32_e64 s[2:3], 3, v11
	v_lshrrev_b32_e32 v6, 2, v6
	s_or_b64 s[0:1], s[2:3], s[0:1]
	v_addc_co_u32_e64 v6, s[0:1], 0, v6, s[0:1]
	v_cmp_gt_i32_e64 s[0:1], 31, v8
	v_and_b32_sdwa v10, v9, s11 dst_sel:DWORD dst_unused:UNUSED_PAD src0_sel:WORD_1 src1_sel:DWORD
	v_lshl_add_u64 v[4:5], v[4:5], 0, s[8:9]
	v_cndmask_b32_e64 v6, v2, v6, s[0:1]
	v_cmp_ne_u32_e64 s[0:1], 0, v3
	s_nop 1
	v_cndmask_b32_e64 v3, 0, 1, s[0:1]
	v_lshl_or_b32 v3, v3, 9, v2
	v_cmp_eq_u32_e64 s[0:1], s10, v8
	s_nop 1
	v_cndmask_b32_e64 v3, v6, v3, s[0:1]
	v_cvt_f64_f32_e32 v[6:7], v7
	v_mul_f64 v[6:7], v[6:7], s[6:7]
	v_and_or_b32 v6, v7, s14, v6
	v_cmp_ne_u32_e64 s[0:1], 0, v6
	v_lshrrev_b32_e32 v8, 8, v7
	v_bfe_u32 v9, v7, 20, 11
	v_cndmask_b32_e64 v6, 0, 1, s[0:1]
	v_and_or_b32 v6, v8, s12, v6
	v_sub_u32_e32 v11, 0x3f1, v9
	v_or_b32_e32 v8, 0x1000, v6
	v_med3_i32 v11, v11, 0, 13
	v_lshrrev_b32_e32 v13, v11, v8
	v_lshlrev_b32_e32 v11, v11, v13
	v_cmp_ne_u32_e64 s[0:1], v11, v8
	v_add_u32_e32 v11, 0xfffffc10, v9
	v_lshl_or_b32 v9, v11, 12, v6
	v_cndmask_b32_e64 v8, 0, 1, s[0:1]
	v_or_b32_e32 v8, v13, v8
	v_cmp_gt_i32_e64 s[0:1], 1, v11
	v_lshrrev_b32_e32 v7, 16, v7
	v_bitop3_b32 v3, v10, s13, v3 bitop3:0xc8
	v_cndmask_b32_e64 v8, v9, v8, s[0:1]
	v_and_b32_e32 v9, 7, v8
	v_cmp_lt_i32_e64 s[0:1], 5, v9
	v_cmp_eq_u32_e64 s[2:3], 3, v9
	v_lshrrev_b32_e32 v8, 2, v8
	s_or_b64 s[0:1], s[2:3], s[0:1]
	v_addc_co_u32_e64 v8, s[0:1], 0, v8, s[0:1]
	v_cmp_gt_i32_e64 s[0:1], 31, v11
	s_nop 1
	v_cndmask_b32_e64 v13, v2, v8, s[0:1]
	v_add_u32_e32 v8, 0x1400, v37
	ds_read2_b32 v[8:9], v8 offset1:160
	v_cmp_ne_u32_e64 s[0:1], 0, v6
	s_waitcnt lgkmcnt(0)
	v_lshrrev_b32_e32 v10, 16, v8
	v_cndmask_b32_e64 v6, 0, 1, s[0:1]
	v_lshl_or_b32 v6, v6, 9, v2
	v_cmp_eq_u32_e64 s[0:1], s10, v11
	s_nop 1
	v_cndmask_b32_e64 v6, v13, v6, s[0:1]
	v_and_or_b32 v6, v7, s11, v6
	v_mul_f16_sdwa v7, v60, v10 dst_sel:DWORD dst_unused:UNUSED_PAD src0_sel:WORD_1 src1_sel:DWORD
	v_fma_f16 v7, v60, v8, v7
	v_cvt_f32_f16_e32 v7, v7
	v_lshl_or_b32 v3, v6, 16, v3
	global_store_dword v[4:5], v3, off
	v_mul_f16_sdwa v8, v60, v8 dst_sel:DWORD dst_unused:UNUSED_PAD src0_sel:WORD_1 src1_sel:DWORD
	v_cvt_f64_f32_e32 v[6:7], v7
	v_mul_f64 v[6:7], v[6:7], s[6:7]
	v_and_or_b32 v3, v7, s14, v6
	v_cmp_ne_u32_e64 s[0:1], 0, v3
	v_lshrrev_b32_e32 v6, 8, v7
	v_bfe_u32 v11, v7, 20, 11
	v_cndmask_b32_e64 v3, 0, 1, s[0:1]
	v_and_or_b32 v3, v6, s12, v3
	v_sub_u32_e32 v13, 0x3f1, v11
	v_or_b32_e32 v6, 0x1000, v3
	v_med3_i32 v13, v13, 0, 13
	v_lshrrev_b32_e32 v14, v13, v6
	v_lshlrev_b32_e32 v13, v13, v14
	v_cmp_ne_u32_e64 s[0:1], v13, v6
	v_add_u32_e32 v11, 0xfffffc10, v11
	v_lshl_or_b32 v13, v11, 12, v3
	v_cndmask_b32_e64 v6, 0, 1, s[0:1]
	v_or_b32_e32 v6, v14, v6
	v_cmp_gt_i32_e64 s[0:1], 1, v11
	v_fma_f16 v8, v60, v10, -v8
	v_cvt_f32_f16_e32 v8, v8
	v_cndmask_b32_e64 v6, v13, v6, s[0:1]
	v_and_b32_e32 v13, 7, v6
	v_cmp_lt_i32_e64 s[0:1], 5, v13
	v_cmp_eq_u32_e64 s[2:3], 3, v13
	v_lshrrev_b32_e32 v6, 2, v6
	s_or_b64 s[0:1], s[2:3], s[0:1]
	v_addc_co_u32_e64 v6, s[0:1], 0, v6, s[0:1]
	v_cmp_gt_i32_e64 s[0:1], 31, v11
	v_and_b32_sdwa v13, v7, s11 dst_sel:DWORD dst_unused:UNUSED_PAD src0_sel:WORD_1 src1_sel:DWORD
	s_nop 0
	v_cndmask_b32_e64 v6, v2, v6, s[0:1]
	v_cmp_ne_u32_e64 s[0:1], 0, v3
	s_nop 1
	v_cndmask_b32_e64 v3, 0, 1, s[0:1]
	v_lshl_or_b32 v3, v3, 9, v2
	v_cmp_eq_u32_e64 s[0:1], s10, v11
	s_nop 1
	v_cndmask_b32_e64 v3, v6, v3, s[0:1]
	v_cvt_f64_f32_e32 v[6:7], v8
	v_mul_f64 v[6:7], v[6:7], s[6:7]
	v_and_or_b32 v6, v7, s14, v6
	v_cmp_ne_u32_e64 s[0:1], 0, v6
	v_lshrrev_b32_e32 v8, 8, v7
	v_bfe_u32 v10, v7, 20, 11
	v_cndmask_b32_e64 v6, 0, 1, s[0:1]
	v_and_or_b32 v6, v8, s12, v6
	v_sub_u32_e32 v11, 0x3f1, v10
	v_or_b32_e32 v8, 0x1000, v6
	v_med3_i32 v11, v11, 0, 13
	v_lshrrev_b32_e32 v14, v11, v8
	v_lshlrev_b32_e32 v11, v11, v14
	v_cmp_ne_u32_e64 s[0:1], v11, v8
	v_add_u32_e32 v10, 0xfffffc10, v10
	v_lshl_or_b32 v11, v10, 12, v6
	v_cndmask_b32_e64 v8, 0, 1, s[0:1]
	v_or_b32_e32 v8, v14, v8
	v_cmp_gt_i32_e64 s[0:1], 1, v10
	v_lshrrev_b32_e32 v7, 16, v7
	v_bitop3_b32 v3, v13, s13, v3 bitop3:0xc8
	v_cndmask_b32_e64 v8, v11, v8, s[0:1]
	v_and_b32_e32 v11, 7, v8
	v_cmp_lt_i32_e64 s[0:1], 5, v11
	v_cmp_eq_u32_e64 s[2:3], 3, v11
	v_lshrrev_b32_e32 v8, 2, v8
	s_or_b64 s[0:1], s[2:3], s[0:1]
	v_addc_co_u32_e64 v8, s[0:1], 0, v8, s[0:1]
	v_cmp_gt_i32_e64 s[0:1], 31, v10
	s_nop 1
	v_cndmask_b32_e64 v8, v2, v8, s[0:1]
	v_cmp_ne_u32_e64 s[0:1], 0, v6
	s_nop 1
	v_cndmask_b32_e64 v6, 0, 1, s[0:1]
	v_lshl_or_b32 v6, v6, 9, v2
	v_cmp_eq_u32_e64 s[0:1], s10, v10
	s_nop 1
	v_cndmask_b32_e64 v6, v8, v6, s[0:1]
	v_and_or_b32 v14, v7, s11, v6
	v_mad_u64_u32 v[6:7], s[0:1], s4, v59, 0
	v_mov_b32_e32 v8, v7
	v_mad_u64_u32 v[10:11], s[0:1], s5, v59, v[8:9]
	v_lshrrev_b32_e32 v8, 16, v9
	v_mov_b32_e32 v7, v10
	v_mul_f16_sdwa v10, v58, v8 dst_sel:DWORD dst_unused:UNUSED_PAD src0_sel:WORD_1 src1_sel:DWORD
	v_fma_f16 v10, v58, v9, v10
	v_cvt_f32_f16_e32 v10, v10
	v_lshl_or_b32 v3, v14, 16, v3
	v_lshl_add_u64 v[0:1], v[6:7], 2, v[0:1]
	global_store_dword v[0:1], v3, off
	v_cvt_f64_f32_e32 v[0:1], v10
	v_mul_f64 v[0:1], v[0:1], s[6:7]
	v_and_or_b32 v0, v1, s14, v0
	v_cmp_ne_u32_e64 s[0:1], 0, v0
	v_lshrrev_b32_e32 v3, 8, v1
	v_bfe_u32 v6, v1, 20, 11
	v_cndmask_b32_e64 v0, 0, 1, s[0:1]
	v_and_or_b32 v0, v3, s12, v0
	v_sub_u32_e32 v7, 0x3f1, v6
	v_or_b32_e32 v3, 0x1000, v0
	v_med3_i32 v7, v7, 0, 13
	v_lshrrev_b32_e32 v10, v7, v3
	v_lshlrev_b32_e32 v7, v7, v10
	v_cmp_ne_u32_e64 s[0:1], v7, v3
	v_add_u32_e32 v6, 0xfffffc10, v6
	v_lshl_or_b32 v7, v6, 12, v0
	v_cndmask_b32_e64 v3, 0, 1, s[0:1]
	v_or_b32_e32 v3, v10, v3
	v_cmp_gt_i32_e64 s[0:1], 1, v6
	s_nop 1
	v_cndmask_b32_e64 v3, v7, v3, s[0:1]
	v_and_b32_e32 v7, 7, v3
	v_cmp_lt_i32_e64 s[0:1], 5, v7
	v_cmp_eq_u32_e64 s[2:3], 3, v7
	v_lshrrev_b32_e32 v3, 2, v3
	s_or_b64 s[0:1], s[2:3], s[0:1]
	v_mul_f16_sdwa v7, v58, v9 dst_sel:DWORD dst_unused:UNUSED_PAD src0_sel:WORD_1 src1_sel:DWORD
	v_addc_co_u32_e64 v3, s[0:1], 0, v3, s[0:1]
	v_fma_f16 v7, v58, v8, -v7
	v_cmp_gt_i32_e64 s[0:1], 31, v6
	v_cvt_f32_f16_e32 v7, v7
	s_nop 0
	v_cndmask_b32_e64 v3, v2, v3, s[0:1]
	v_cmp_ne_u32_e64 s[0:1], 0, v0
	s_nop 1
	v_cndmask_b32_e64 v0, 0, 1, s[0:1]
	v_lshl_or_b32 v0, v0, 9, v2
	v_cmp_eq_u32_e64 s[0:1], s10, v6
	v_and_b32_sdwa v6, v1, s11 dst_sel:DWORD dst_unused:UNUSED_PAD src0_sel:WORD_1 src1_sel:DWORD
	s_nop 0
	v_cndmask_b32_e64 v3, v3, v0, s[0:1]
	v_cvt_f64_f32_e32 v[0:1], v7
	v_mul_f64 v[0:1], v[0:1], s[6:7]
	v_and_or_b32 v0, v1, s14, v0
	v_cmp_ne_u32_e64 s[0:1], 0, v0
	v_lshrrev_b32_e32 v7, 8, v1
	v_bfe_u32 v8, v1, 20, 11
	v_cndmask_b32_e64 v0, 0, 1, s[0:1]
	v_and_or_b32 v0, v7, s12, v0
	v_sub_u32_e32 v9, 0x3f1, v8
	v_or_b32_e32 v7, 0x1000, v0
	v_med3_i32 v9, v9, 0, 13
	v_lshrrev_b32_e32 v10, v9, v7
	v_lshlrev_b32_e32 v9, v9, v10
	v_cmp_ne_u32_e64 s[0:1], v9, v7
	v_add_u32_e32 v8, 0xfffffc10, v8
	v_lshl_or_b32 v9, v8, 12, v0
	v_cndmask_b32_e64 v7, 0, 1, s[0:1]
	v_or_b32_e32 v7, v10, v7
	v_cmp_gt_i32_e64 s[0:1], 1, v8
	v_lshrrev_b32_e32 v1, 16, v1
	s_nop 0
	v_cndmask_b32_e64 v7, v9, v7, s[0:1]
	v_and_b32_e32 v9, 7, v7
	v_cmp_lt_i32_e64 s[0:1], 5, v9
	v_cmp_eq_u32_e64 s[2:3], 3, v9
	v_lshrrev_b32_e32 v7, 2, v7
	s_or_b64 s[0:1], s[2:3], s[0:1]
	v_addc_co_u32_e64 v7, s[0:1], 0, v7, s[0:1]
	v_cmp_gt_i32_e64 s[0:1], 31, v8
	s_nop 1
	v_cndmask_b32_e64 v7, v2, v7, s[0:1]
	v_cmp_ne_u32_e64 s[0:1], 0, v0
	s_nop 1
	v_cndmask_b32_e64 v0, 0, 1, s[0:1]
	v_lshl_or_b32 v0, v0, 9, v2
	v_cmp_eq_u32_e64 s[0:1], s10, v8
	s_nop 1
	v_cndmask_b32_e64 v0, v7, v0, s[0:1]
	v_and_or_b32 v0, v1, s11, v0
	v_bitop3_b32 v1, v6, s13, v3 bitop3:0xc8
	v_lshl_or_b32 v3, v0, 16, v1
	v_mad_u64_u32 v[0:1], s[0:1], s4, v12, v[4:5]
	v_add_u32_e32 v1, s16, v1
	global_store_dword v[0:1], v3, off
	s_and_b64 exec, exec, vcc
	s_cbranch_execz .LBB0_23
; %bb.22:
	global_load_dword v3, v[32:33], off offset:400
	v_add_u32_e32 v4, 0x100, v37
	ds_read2_b32 v[4:5], v4 offset0:36 offset1:196
	v_mov_b32_e32 v6, 0xffffeb10
	v_mad_u64_u32 v[0:1], s[0:1], s4, v6, v[0:1]
	s_mul_i32 s2, s5, 0xffffeb10
	s_waitcnt lgkmcnt(0)
	v_lshrrev_b32_e32 v6, 16, v4
	s_sub_i32 s0, s2, s4
	v_add_u32_e32 v1, s0, v1
	s_waitcnt vmcnt(0)
	v_mul_f16_sdwa v7, v6, v3 dst_sel:DWORD dst_unused:UNUSED_PAD src0_sel:DWORD src1_sel:WORD_1
	v_mul_f16_sdwa v8, v4, v3 dst_sel:DWORD dst_unused:UNUSED_PAD src0_sel:DWORD src1_sel:WORD_1
	v_fma_f16 v4, v4, v3, v7
	v_fma_f16 v3, v3, v6, -v8
	v_cvt_f32_f16_e32 v4, v4
	v_cvt_f32_f16_e32 v3, v3
	v_cvt_f64_f32_e32 v[6:7], v4
	v_cvt_f64_f32_e32 v[8:9], v3
	v_mul_f64 v[6:7], v[6:7], s[6:7]
	v_mul_f64 v[8:9], v[8:9], s[6:7]
	v_and_or_b32 v3, v7, s14, v6
	v_and_or_b32 v8, v9, s14, v8
	v_cmp_ne_u32_e32 vcc, 0, v3
	v_lshrrev_b32_e32 v4, 8, v7
	v_bfe_u32 v6, v7, 20, 11
	v_cndmask_b32_e64 v3, 0, 1, vcc
	v_cmp_ne_u32_e32 vcc, 0, v8
	v_lshrrev_b32_e32 v10, 8, v9
	v_bfe_u32 v11, v9, 20, 11
	v_sub_u32_e32 v12, 0x3f1, v6
	v_cndmask_b32_e64 v8, 0, 1, vcc
	v_and_or_b32 v3, v4, s12, v3
	v_sub_u32_e32 v13, 0x3f1, v11
	v_med3_i32 v4, v12, 0, 13
	v_and_or_b32 v8, v10, s12, v8
	v_or_b32_e32 v12, 0x1000, v3
	v_add_u32_e32 v6, 0xfffffc10, v6
	v_med3_i32 v10, v13, 0, 13
	v_cmp_ne_u32_e32 vcc, 0, v3
	v_or_b32_e32 v14, 0x1000, v8
	v_lshrrev_b32_e32 v16, v4, v12
	v_add_u32_e32 v11, 0xfffffc10, v11
	v_lshl_or_b32 v13, v6, 12, v3
	v_cndmask_b32_e64 v3, 0, 1, vcc
	v_cmp_ne_u32_e32 vcc, 0, v8
	v_lshrrev_b32_e32 v17, v10, v14
	v_lshlrev_b32_e32 v4, v4, v16
	v_lshl_or_b32 v15, v11, 12, v8
	v_cndmask_b32_e64 v8, 0, 1, vcc
	v_lshlrev_b32_e32 v10, v10, v17
	v_cmp_ne_u32_e32 vcc, v4, v12
	v_lshl_or_b32 v3, v3, 9, v2
	v_lshl_or_b32 v8, v8, 9, v2
	v_cndmask_b32_e64 v4, 0, 1, vcc
	v_cmp_ne_u32_e32 vcc, v10, v14
	v_or_b32_e32 v4, v16, v4
	v_and_b32_sdwa v7, v7, s11 dst_sel:DWORD dst_unused:UNUSED_PAD src0_sel:WORD_1 src1_sel:DWORD
	v_cndmask_b32_e64 v10, 0, 1, vcc
	v_cmp_gt_i32_e32 vcc, 1, v6
	v_or_b32_e32 v10, v17, v10
	v_lshrrev_b32_e32 v9, 16, v9
	v_cndmask_b32_e32 v4, v13, v4, vcc
	v_cmp_gt_i32_e32 vcc, 1, v11
	v_and_b32_e32 v12, 7, v4
	v_cmp_eq_u32_e64 s[0:1], 3, v12
	v_cndmask_b32_e32 v10, v15, v10, vcc
	v_cmp_lt_i32_e32 vcc, 5, v12
	v_lshrrev_b32_e32 v4, 2, v4
	v_and_b32_e32 v13, 7, v10
	s_or_b64 vcc, s[0:1], vcc
	v_cmp_lt_i32_e64 s[2:3], 5, v13
	v_cmp_eq_u32_e64 s[4:5], 3, v13
	v_addc_co_u32_e32 v4, vcc, 0, v4, vcc
	v_lshrrev_b32_e32 v10, 2, v10
	s_or_b64 vcc, s[4:5], s[2:3]
	v_addc_co_u32_e32 v10, vcc, 0, v10, vcc
	v_cmp_gt_i32_e32 vcc, 31, v6
	s_nop 1
	v_cndmask_b32_e32 v4, v2, v4, vcc
	v_cmp_gt_i32_e32 vcc, 31, v11
	s_nop 1
	v_cndmask_b32_e32 v10, v2, v10, vcc
	v_cmp_eq_u32_e32 vcc, s10, v6
	s_nop 1
	v_cndmask_b32_e32 v3, v4, v3, vcc
	v_cmp_eq_u32_e32 vcc, s10, v11
	v_bitop3_b32 v3, v7, s13, v3 bitop3:0xc8
	s_nop 0
	v_cndmask_b32_e32 v4, v10, v8, vcc
	v_and_or_b32 v4, v9, s11, v4
	v_lshl_or_b32 v3, v4, 16, v3
	global_store_dword v[0:1], v3, off
	global_load_dword v3, v[32:33], off offset:1040
	v_lshrrev_b32_e32 v4, 16, v5
	v_lshl_add_u64 v[0:1], v[0:1], 0, s[8:9]
	s_waitcnt vmcnt(0)
	v_mul_f16_sdwa v6, v4, v3 dst_sel:DWORD dst_unused:UNUSED_PAD src0_sel:DWORD src1_sel:WORD_1
	v_mul_f16_sdwa v7, v5, v3 dst_sel:DWORD dst_unused:UNUSED_PAD src0_sel:DWORD src1_sel:WORD_1
	v_fma_f16 v5, v5, v3, v6
	v_fma_f16 v3, v3, v4, -v7
	v_cvt_f32_f16_e32 v4, v5
	v_cvt_f32_f16_e32 v3, v3
	v_cvt_f64_f32_e32 v[4:5], v4
	v_cvt_f64_f32_e32 v[6:7], v3
	v_mul_f64 v[4:5], v[4:5], s[6:7]
	v_mul_f64 v[6:7], v[6:7], s[6:7]
	v_and_or_b32 v3, v5, s14, v4
	v_and_or_b32 v6, v7, s14, v6
	v_cmp_ne_u32_e32 vcc, 0, v3
	v_lshrrev_b32_e32 v4, 8, v5
	v_bfe_u32 v8, v5, 20, 11
	v_cndmask_b32_e64 v3, 0, 1, vcc
	v_cmp_ne_u32_e32 vcc, 0, v6
	v_lshrrev_b32_e32 v9, 8, v7
	v_bfe_u32 v10, v7, 20, 11
	v_sub_u32_e32 v11, 0x3f1, v8
	v_cndmask_b32_e64 v6, 0, 1, vcc
	v_and_or_b32 v3, v4, s12, v3
	v_sub_u32_e32 v12, 0x3f1, v10
	v_med3_i32 v4, v11, 0, 13
	v_and_or_b32 v6, v9, s12, v6
	v_or_b32_e32 v11, 0x1000, v3
	v_add_u32_e32 v8, 0xfffffc10, v8
	v_med3_i32 v9, v12, 0, 13
	v_cmp_ne_u32_e32 vcc, 0, v3
	v_or_b32_e32 v13, 0x1000, v6
	v_lshrrev_b32_e32 v15, v4, v11
	v_add_u32_e32 v10, 0xfffffc10, v10
	v_lshl_or_b32 v12, v8, 12, v3
	v_cndmask_b32_e64 v3, 0, 1, vcc
	v_cmp_ne_u32_e32 vcc, 0, v6
	v_lshrrev_b32_e32 v16, v9, v13
	v_lshlrev_b32_e32 v4, v4, v15
	v_lshl_or_b32 v14, v10, 12, v6
	v_cndmask_b32_e64 v6, 0, 1, vcc
	v_lshlrev_b32_e32 v9, v9, v16
	v_cmp_ne_u32_e32 vcc, v4, v11
	v_lshl_or_b32 v3, v3, 9, v2
	v_lshl_or_b32 v6, v6, 9, v2
	v_cndmask_b32_e64 v4, 0, 1, vcc
	v_cmp_ne_u32_e32 vcc, v9, v13
	v_or_b32_e32 v4, v15, v4
	v_and_b32_sdwa v5, v5, s11 dst_sel:DWORD dst_unused:UNUSED_PAD src0_sel:WORD_1 src1_sel:DWORD
	v_cndmask_b32_e64 v9, 0, 1, vcc
	v_cmp_gt_i32_e32 vcc, 1, v8
	v_or_b32_e32 v9, v16, v9
	v_lshrrev_b32_e32 v7, 16, v7
	v_cndmask_b32_e32 v4, v12, v4, vcc
	v_cmp_gt_i32_e32 vcc, 1, v10
	v_and_b32_e32 v11, 7, v4
	v_cmp_eq_u32_e64 s[0:1], 3, v11
	v_cndmask_b32_e32 v9, v14, v9, vcc
	v_cmp_lt_i32_e32 vcc, 5, v11
	v_lshrrev_b32_e32 v4, 2, v4
	v_and_b32_e32 v12, 7, v9
	s_or_b64 vcc, s[0:1], vcc
	v_cmp_lt_i32_e64 s[2:3], 5, v12
	v_cmp_eq_u32_e64 s[4:5], 3, v12
	v_addc_co_u32_e32 v4, vcc, 0, v4, vcc
	v_lshrrev_b32_e32 v9, 2, v9
	s_or_b64 vcc, s[4:5], s[2:3]
	v_addc_co_u32_e32 v9, vcc, 0, v9, vcc
	v_cmp_gt_i32_e32 vcc, 31, v8
	s_nop 1
	v_cndmask_b32_e32 v4, v2, v4, vcc
	v_cmp_gt_i32_e32 vcc, 31, v10
	s_nop 1
	v_cndmask_b32_e32 v9, v2, v9, vcc
	v_cmp_eq_u32_e32 vcc, s10, v8
	s_nop 1
	v_cndmask_b32_e32 v3, v4, v3, vcc
	v_cmp_eq_u32_e32 vcc, s10, v10
	v_bitop3_b32 v3, v5, s13, v3 bitop3:0xc8
	s_nop 0
	v_cndmask_b32_e32 v4, v9, v6, vcc
	v_and_or_b32 v4, v7, s11, v4
	v_lshl_or_b32 v3, v4, 16, v3
	global_store_dword v[0:1], v3, off
	global_load_dword v3, v[32:33], off offset:1680
	v_add_u32_e32 v4, 0x600, v37
	ds_read2_b32 v[4:5], v4 offset0:36 offset1:196
	v_lshl_add_u64 v[0:1], v[0:1], 0, s[8:9]
	s_waitcnt lgkmcnt(0)
	v_lshrrev_b32_e32 v6, 16, v4
	s_waitcnt vmcnt(0)
	v_mul_f16_sdwa v7, v6, v3 dst_sel:DWORD dst_unused:UNUSED_PAD src0_sel:DWORD src1_sel:WORD_1
	v_mul_f16_sdwa v8, v4, v3 dst_sel:DWORD dst_unused:UNUSED_PAD src0_sel:DWORD src1_sel:WORD_1
	v_fma_f16 v4, v4, v3, v7
	v_fma_f16 v3, v3, v6, -v8
	v_cvt_f32_f16_e32 v4, v4
	v_cvt_f32_f16_e32 v3, v3
	v_cvt_f64_f32_e32 v[6:7], v4
	v_cvt_f64_f32_e32 v[8:9], v3
	v_mul_f64 v[6:7], v[6:7], s[6:7]
	v_mul_f64 v[8:9], v[8:9], s[6:7]
	v_and_or_b32 v3, v7, s14, v6
	v_and_or_b32 v8, v9, s14, v8
	v_cmp_ne_u32_e32 vcc, 0, v3
	v_lshrrev_b32_e32 v4, 8, v7
	v_bfe_u32 v6, v7, 20, 11
	v_cndmask_b32_e64 v3, 0, 1, vcc
	v_cmp_ne_u32_e32 vcc, 0, v8
	v_lshrrev_b32_e32 v10, 8, v9
	v_bfe_u32 v11, v9, 20, 11
	v_sub_u32_e32 v12, 0x3f1, v6
	v_cndmask_b32_e64 v8, 0, 1, vcc
	v_and_or_b32 v3, v4, s12, v3
	v_sub_u32_e32 v13, 0x3f1, v11
	v_med3_i32 v4, v12, 0, 13
	v_and_or_b32 v8, v10, s12, v8
	v_or_b32_e32 v12, 0x1000, v3
	v_add_u32_e32 v6, 0xfffffc10, v6
	v_med3_i32 v10, v13, 0, 13
	v_cmp_ne_u32_e32 vcc, 0, v3
	v_or_b32_e32 v14, 0x1000, v8
	v_lshrrev_b32_e32 v16, v4, v12
	v_add_u32_e32 v11, 0xfffffc10, v11
	v_lshl_or_b32 v13, v6, 12, v3
	v_cndmask_b32_e64 v3, 0, 1, vcc
	v_cmp_ne_u32_e32 vcc, 0, v8
	v_lshrrev_b32_e32 v17, v10, v14
	v_lshlrev_b32_e32 v4, v4, v16
	v_lshl_or_b32 v15, v11, 12, v8
	v_cndmask_b32_e64 v8, 0, 1, vcc
	v_lshlrev_b32_e32 v10, v10, v17
	v_cmp_ne_u32_e32 vcc, v4, v12
	v_lshl_or_b32 v3, v3, 9, v2
	v_lshl_or_b32 v8, v8, 9, v2
	v_cndmask_b32_e64 v4, 0, 1, vcc
	v_cmp_ne_u32_e32 vcc, v10, v14
	v_or_b32_e32 v4, v16, v4
	v_and_b32_sdwa v7, v7, s11 dst_sel:DWORD dst_unused:UNUSED_PAD src0_sel:WORD_1 src1_sel:DWORD
	v_cndmask_b32_e64 v10, 0, 1, vcc
	v_cmp_gt_i32_e32 vcc, 1, v6
	v_or_b32_e32 v10, v17, v10
	v_lshrrev_b32_e32 v9, 16, v9
	v_cndmask_b32_e32 v4, v13, v4, vcc
	v_cmp_gt_i32_e32 vcc, 1, v11
	v_and_b32_e32 v12, 7, v4
	v_cmp_eq_u32_e64 s[0:1], 3, v12
	v_cndmask_b32_e32 v10, v15, v10, vcc
	v_cmp_lt_i32_e32 vcc, 5, v12
	v_lshrrev_b32_e32 v4, 2, v4
	v_and_b32_e32 v13, 7, v10
	s_or_b64 vcc, s[0:1], vcc
	v_cmp_lt_i32_e64 s[2:3], 5, v13
	v_cmp_eq_u32_e64 s[4:5], 3, v13
	v_addc_co_u32_e32 v4, vcc, 0, v4, vcc
	v_lshrrev_b32_e32 v10, 2, v10
	s_or_b64 vcc, s[4:5], s[2:3]
	v_addc_co_u32_e32 v10, vcc, 0, v10, vcc
	v_cmp_gt_i32_e32 vcc, 31, v6
	s_nop 1
	v_cndmask_b32_e32 v4, v2, v4, vcc
	v_cmp_gt_i32_e32 vcc, 31, v11
	s_nop 1
	v_cndmask_b32_e32 v10, v2, v10, vcc
	v_cmp_eq_u32_e32 vcc, s10, v6
	s_nop 1
	v_cndmask_b32_e32 v3, v4, v3, vcc
	v_cmp_eq_u32_e32 vcc, s10, v11
	v_bitop3_b32 v3, v7, s13, v3 bitop3:0xc8
	s_nop 0
	v_cndmask_b32_e32 v4, v10, v8, vcc
	v_and_or_b32 v4, v9, s11, v4
	v_lshl_or_b32 v3, v4, 16, v3
	global_store_dword v[0:1], v3, off
	global_load_dword v3, v[32:33], off offset:2320
	v_lshrrev_b32_e32 v4, 16, v5
	v_lshl_add_u64 v[0:1], v[0:1], 0, s[8:9]
	s_waitcnt vmcnt(0)
	v_mul_f16_sdwa v6, v4, v3 dst_sel:DWORD dst_unused:UNUSED_PAD src0_sel:DWORD src1_sel:WORD_1
	v_mul_f16_sdwa v7, v5, v3 dst_sel:DWORD dst_unused:UNUSED_PAD src0_sel:DWORD src1_sel:WORD_1
	v_fma_f16 v5, v5, v3, v6
	v_fma_f16 v3, v3, v4, -v7
	v_cvt_f32_f16_e32 v4, v5
	v_cvt_f32_f16_e32 v3, v3
	v_cvt_f64_f32_e32 v[4:5], v4
	v_cvt_f64_f32_e32 v[6:7], v3
	v_mul_f64 v[4:5], v[4:5], s[6:7]
	v_mul_f64 v[6:7], v[6:7], s[6:7]
	v_and_or_b32 v3, v5, s14, v4
	v_and_or_b32 v6, v7, s14, v6
	v_cmp_ne_u32_e32 vcc, 0, v3
	v_lshrrev_b32_e32 v4, 8, v5
	v_bfe_u32 v8, v5, 20, 11
	v_cndmask_b32_e64 v3, 0, 1, vcc
	v_cmp_ne_u32_e32 vcc, 0, v6
	v_lshrrev_b32_e32 v9, 8, v7
	v_bfe_u32 v10, v7, 20, 11
	v_sub_u32_e32 v11, 0x3f1, v8
	v_cndmask_b32_e64 v6, 0, 1, vcc
	v_and_or_b32 v3, v4, s12, v3
	v_sub_u32_e32 v12, 0x3f1, v10
	v_med3_i32 v4, v11, 0, 13
	v_and_or_b32 v6, v9, s12, v6
	v_or_b32_e32 v11, 0x1000, v3
	v_add_u32_e32 v8, 0xfffffc10, v8
	v_med3_i32 v9, v12, 0, 13
	v_cmp_ne_u32_e32 vcc, 0, v3
	v_or_b32_e32 v13, 0x1000, v6
	v_lshrrev_b32_e32 v15, v4, v11
	v_add_u32_e32 v10, 0xfffffc10, v10
	v_lshl_or_b32 v12, v8, 12, v3
	v_cndmask_b32_e64 v3, 0, 1, vcc
	v_cmp_ne_u32_e32 vcc, 0, v6
	v_lshrrev_b32_e32 v16, v9, v13
	v_lshlrev_b32_e32 v4, v4, v15
	v_lshl_or_b32 v14, v10, 12, v6
	v_cndmask_b32_e64 v6, 0, 1, vcc
	v_lshlrev_b32_e32 v9, v9, v16
	v_cmp_ne_u32_e32 vcc, v4, v11
	v_lshl_or_b32 v3, v3, 9, v2
	v_lshl_or_b32 v6, v6, 9, v2
	v_cndmask_b32_e64 v4, 0, 1, vcc
	v_cmp_ne_u32_e32 vcc, v9, v13
	v_or_b32_e32 v4, v15, v4
	v_and_b32_sdwa v5, v5, s11 dst_sel:DWORD dst_unused:UNUSED_PAD src0_sel:WORD_1 src1_sel:DWORD
	v_cndmask_b32_e64 v9, 0, 1, vcc
	v_cmp_gt_i32_e32 vcc, 1, v8
	v_or_b32_e32 v9, v16, v9
	v_lshrrev_b32_e32 v7, 16, v7
	v_cndmask_b32_e32 v4, v12, v4, vcc
	v_cmp_gt_i32_e32 vcc, 1, v10
	v_and_b32_e32 v11, 7, v4
	v_cmp_eq_u32_e64 s[0:1], 3, v11
	v_cndmask_b32_e32 v9, v14, v9, vcc
	v_cmp_lt_i32_e32 vcc, 5, v11
	v_lshrrev_b32_e32 v4, 2, v4
	v_and_b32_e32 v12, 7, v9
	s_or_b64 vcc, s[0:1], vcc
	v_cmp_lt_i32_e64 s[2:3], 5, v12
	v_cmp_eq_u32_e64 s[4:5], 3, v12
	v_addc_co_u32_e32 v4, vcc, 0, v4, vcc
	v_lshrrev_b32_e32 v9, 2, v9
	s_or_b64 vcc, s[4:5], s[2:3]
	v_addc_co_u32_e32 v9, vcc, 0, v9, vcc
	v_cmp_gt_i32_e32 vcc, 31, v8
	s_nop 1
	v_cndmask_b32_e32 v4, v2, v4, vcc
	v_cmp_gt_i32_e32 vcc, 31, v10
	s_nop 1
	v_cndmask_b32_e32 v9, v2, v9, vcc
	v_cmp_eq_u32_e32 vcc, s10, v8
	s_nop 1
	v_cndmask_b32_e32 v3, v4, v3, vcc
	v_cmp_eq_u32_e32 vcc, s10, v10
	v_bitop3_b32 v3, v5, s13, v3 bitop3:0xc8
	s_nop 0
	v_cndmask_b32_e32 v4, v9, v6, vcc
	v_and_or_b32 v4, v7, s11, v4
	v_lshl_or_b32 v3, v4, 16, v3
	global_store_dword v[0:1], v3, off
	global_load_dword v3, v[32:33], off offset:2960
	v_add_u32_e32 v4, 0xb00, v37
	ds_read2_b32 v[4:5], v4 offset0:36 offset1:196
	s_waitcnt lgkmcnt(0)
	v_lshrrev_b32_e32 v6, 16, v4
	s_waitcnt vmcnt(0)
	v_mul_f16_sdwa v7, v6, v3 dst_sel:DWORD dst_unused:UNUSED_PAD src0_sel:DWORD src1_sel:WORD_1
	v_mul_f16_sdwa v8, v4, v3 dst_sel:DWORD dst_unused:UNUSED_PAD src0_sel:DWORD src1_sel:WORD_1
	v_fma_f16 v4, v4, v3, v7
	v_fma_f16 v3, v3, v6, -v8
	v_cvt_f32_f16_e32 v4, v4
	v_cvt_f32_f16_e32 v3, v3
	v_lshl_add_u64 v[6:7], v[0:1], 0, s[8:9]
	v_cvt_f64_f32_e32 v[0:1], v4
	v_cvt_f64_f32_e32 v[8:9], v3
	v_mul_f64 v[0:1], v[0:1], s[6:7]
	v_mul_f64 v[8:9], v[8:9], s[6:7]
	v_and_or_b32 v0, v1, s14, v0
	v_and_or_b32 v8, v9, s14, v8
	v_cmp_ne_u32_e32 vcc, 0, v0
	v_lshrrev_b32_e32 v3, 8, v1
	v_bfe_u32 v4, v1, 20, 11
	v_cndmask_b32_e64 v0, 0, 1, vcc
	v_cmp_ne_u32_e32 vcc, 0, v8
	v_lshrrev_b32_e32 v10, 8, v9
	v_bfe_u32 v11, v9, 20, 11
	v_sub_u32_e32 v12, 0x3f1, v4
	v_cndmask_b32_e64 v8, 0, 1, vcc
	v_and_or_b32 v0, v3, s12, v0
	v_sub_u32_e32 v13, 0x3f1, v11
	v_med3_i32 v3, v12, 0, 13
	v_and_or_b32 v8, v10, s12, v8
	v_or_b32_e32 v12, 0x1000, v0
	v_add_u32_e32 v4, 0xfffffc10, v4
	v_med3_i32 v10, v13, 0, 13
	v_cmp_ne_u32_e32 vcc, 0, v0
	v_or_b32_e32 v14, 0x1000, v8
	v_lshrrev_b32_e32 v16, v3, v12
	v_add_u32_e32 v11, 0xfffffc10, v11
	v_lshl_or_b32 v13, v4, 12, v0
	v_cndmask_b32_e64 v0, 0, 1, vcc
	v_cmp_ne_u32_e32 vcc, 0, v8
	v_lshrrev_b32_e32 v17, v10, v14
	v_lshlrev_b32_e32 v3, v3, v16
	v_lshl_or_b32 v15, v11, 12, v8
	v_cndmask_b32_e64 v8, 0, 1, vcc
	v_lshlrev_b32_e32 v10, v10, v17
	v_cmp_ne_u32_e32 vcc, v3, v12
	v_lshl_or_b32 v0, v0, 9, v2
	v_lshl_or_b32 v8, v8, 9, v2
	v_cndmask_b32_e64 v3, 0, 1, vcc
	v_cmp_ne_u32_e32 vcc, v10, v14
	v_or_b32_e32 v3, v16, v3
	v_and_b32_sdwa v1, v1, s11 dst_sel:DWORD dst_unused:UNUSED_PAD src0_sel:WORD_1 src1_sel:DWORD
	v_cndmask_b32_e64 v10, 0, 1, vcc
	v_cmp_gt_i32_e32 vcc, 1, v4
	v_or_b32_e32 v10, v17, v10
	v_lshrrev_b32_e32 v9, 16, v9
	v_cndmask_b32_e32 v3, v13, v3, vcc
	v_cmp_gt_i32_e32 vcc, 1, v11
	v_and_b32_e32 v12, 7, v3
	v_cmp_eq_u32_e64 s[0:1], 3, v12
	v_cndmask_b32_e32 v10, v15, v10, vcc
	v_cmp_lt_i32_e32 vcc, 5, v12
	v_lshrrev_b32_e32 v3, 2, v3
	v_and_b32_e32 v13, 7, v10
	s_or_b64 vcc, s[0:1], vcc
	v_cmp_lt_i32_e64 s[2:3], 5, v13
	v_cmp_eq_u32_e64 s[4:5], 3, v13
	v_addc_co_u32_e32 v3, vcc, 0, v3, vcc
	v_lshrrev_b32_e32 v10, 2, v10
	s_or_b64 vcc, s[4:5], s[2:3]
	v_addc_co_u32_e32 v10, vcc, 0, v10, vcc
	v_cmp_gt_i32_e32 vcc, 31, v4
	s_nop 1
	v_cndmask_b32_e32 v3, v2, v3, vcc
	v_cmp_gt_i32_e32 vcc, 31, v11
	s_nop 1
	v_cndmask_b32_e32 v10, v2, v10, vcc
	v_cmp_eq_u32_e32 vcc, s10, v4
	s_nop 1
	v_cndmask_b32_e32 v0, v3, v0, vcc
	v_cmp_eq_u32_e32 vcc, s10, v11
	v_bitop3_b32 v0, v1, s13, v0 bitop3:0xc8
	v_lshrrev_b32_e32 v1, 16, v5
	v_cndmask_b32_e32 v3, v10, v8, vcc
	v_and_or_b32 v3, v9, s11, v3
	v_lshl_or_b32 v0, v3, 16, v0
	global_store_dword v[6:7], v0, off
	global_load_dword v0, v[32:33], off offset:3600
	s_waitcnt vmcnt(0)
	v_mul_f16_sdwa v3, v1, v0 dst_sel:DWORD dst_unused:UNUSED_PAD src0_sel:DWORD src1_sel:WORD_1
	v_mul_f16_sdwa v4, v5, v0 dst_sel:DWORD dst_unused:UNUSED_PAD src0_sel:DWORD src1_sel:WORD_1
	v_fma_f16 v3, v5, v0, v3
	v_fma_f16 v0, v0, v1, -v4
	v_cvt_f32_f16_e32 v3, v3
	v_cvt_f32_f16_e32 v8, v0
	v_lshl_add_u64 v[4:5], v[6:7], 0, s[8:9]
	v_add_co_u32_e32 v0, vcc, s15, v32
	v_cvt_f64_f32_e32 v[6:7], v3
	v_cvt_f64_f32_e32 v[8:9], v8
	v_mul_f64 v[6:7], v[6:7], s[6:7]
	v_addc_co_u32_e32 v1, vcc, 0, v33, vcc
	v_mul_f64 v[8:9], v[8:9], s[6:7]
	v_and_or_b32 v3, v7, s14, v6
	v_and_or_b32 v8, v9, s14, v8
	v_cmp_ne_u32_e32 vcc, 0, v3
	v_lshrrev_b32_e32 v6, 8, v7
	v_bfe_u32 v10, v7, 20, 11
	v_cndmask_b32_e64 v3, 0, 1, vcc
	v_cmp_ne_u32_e32 vcc, 0, v8
	v_lshrrev_b32_e32 v11, 8, v9
	v_bfe_u32 v12, v9, 20, 11
	v_sub_u32_e32 v13, 0x3f1, v10
	v_cndmask_b32_e64 v8, 0, 1, vcc
	v_and_or_b32 v3, v6, s12, v3
	v_sub_u32_e32 v14, 0x3f1, v12
	v_med3_i32 v6, v13, 0, 13
	v_and_or_b32 v8, v11, s12, v8
	v_or_b32_e32 v13, 0x1000, v3
	v_add_u32_e32 v10, 0xfffffc10, v10
	v_med3_i32 v11, v14, 0, 13
	v_cmp_ne_u32_e32 vcc, 0, v3
	v_or_b32_e32 v15, 0x1000, v8
	v_lshrrev_b32_e32 v17, v6, v13
	v_add_u32_e32 v12, 0xfffffc10, v12
	v_lshl_or_b32 v14, v10, 12, v3
	v_cndmask_b32_e64 v3, 0, 1, vcc
	v_cmp_ne_u32_e32 vcc, 0, v8
	v_lshrrev_b32_e32 v18, v11, v15
	v_lshlrev_b32_e32 v6, v6, v17
	v_lshl_or_b32 v16, v12, 12, v8
	v_cndmask_b32_e64 v8, 0, 1, vcc
	v_lshlrev_b32_e32 v11, v11, v18
	v_cmp_ne_u32_e32 vcc, v6, v13
	v_lshl_or_b32 v3, v3, 9, v2
	v_lshl_or_b32 v8, v8, 9, v2
	v_cndmask_b32_e64 v6, 0, 1, vcc
	v_cmp_ne_u32_e32 vcc, v11, v15
	v_or_b32_e32 v6, v17, v6
	v_and_b32_sdwa v7, v7, s11 dst_sel:DWORD dst_unused:UNUSED_PAD src0_sel:WORD_1 src1_sel:DWORD
	v_cndmask_b32_e64 v11, 0, 1, vcc
	v_cmp_gt_i32_e32 vcc, 1, v10
	v_or_b32_e32 v11, v18, v11
	v_lshrrev_b32_e32 v9, 16, v9
	v_cndmask_b32_e32 v6, v14, v6, vcc
	v_cmp_gt_i32_e32 vcc, 1, v12
	v_and_b32_e32 v13, 7, v6
	v_cmp_eq_u32_e64 s[0:1], 3, v13
	v_cndmask_b32_e32 v11, v16, v11, vcc
	v_cmp_lt_i32_e32 vcc, 5, v13
	v_lshrrev_b32_e32 v6, 2, v6
	v_and_b32_e32 v14, 7, v11
	s_or_b64 vcc, s[0:1], vcc
	v_cmp_lt_i32_e64 s[2:3], 5, v14
	v_cmp_eq_u32_e64 s[4:5], 3, v14
	v_addc_co_u32_e32 v6, vcc, 0, v6, vcc
	v_lshrrev_b32_e32 v11, 2, v11
	s_or_b64 vcc, s[4:5], s[2:3]
	v_addc_co_u32_e32 v11, vcc, 0, v11, vcc
	v_cmp_gt_i32_e32 vcc, 31, v10
	s_nop 1
	v_cndmask_b32_e32 v6, v2, v6, vcc
	v_cmp_gt_i32_e32 vcc, 31, v12
	s_nop 1
	v_cndmask_b32_e32 v11, v2, v11, vcc
	v_cmp_eq_u32_e32 vcc, s10, v10
	s_nop 1
	v_cndmask_b32_e32 v3, v6, v3, vcc
	v_cmp_eq_u32_e32 vcc, s10, v12
	v_bitop3_b32 v3, v7, s13, v3 bitop3:0xc8
	s_nop 0
	v_cndmask_b32_e32 v6, v11, v8, vcc
	v_and_or_b32 v6, v9, s11, v6
	v_lshl_or_b32 v3, v6, 16, v3
	global_store_dword v[4:5], v3, off
	global_load_dword v3, v[0:1], off offset:144
	v_add_u32_e32 v6, 0x1000, v37
	ds_read2_b32 v[6:7], v6 offset0:36 offset1:196
	v_lshl_add_u64 v[4:5], v[4:5], 0, s[8:9]
	s_waitcnt lgkmcnt(0)
	v_lshrrev_b32_e32 v8, 16, v6
	s_waitcnt vmcnt(0)
	v_mul_f16_sdwa v9, v8, v3 dst_sel:DWORD dst_unused:UNUSED_PAD src0_sel:DWORD src1_sel:WORD_1
	v_mul_f16_sdwa v10, v6, v3 dst_sel:DWORD dst_unused:UNUSED_PAD src0_sel:DWORD src1_sel:WORD_1
	v_fma_f16 v6, v6, v3, v9
	v_fma_f16 v3, v3, v8, -v10
	v_cvt_f32_f16_e32 v6, v6
	v_cvt_f32_f16_e32 v3, v3
	v_cvt_f64_f32_e32 v[8:9], v6
	v_cvt_f64_f32_e32 v[10:11], v3
	v_mul_f64 v[8:9], v[8:9], s[6:7]
	v_mul_f64 v[10:11], v[10:11], s[6:7]
	v_and_or_b32 v3, v9, s14, v8
	v_and_or_b32 v10, v11, s14, v10
	v_cmp_ne_u32_e32 vcc, 0, v3
	v_lshrrev_b32_e32 v6, 8, v9
	v_bfe_u32 v8, v9, 20, 11
	v_cndmask_b32_e64 v3, 0, 1, vcc
	v_cmp_ne_u32_e32 vcc, 0, v10
	v_lshrrev_b32_e32 v12, 8, v11
	v_bfe_u32 v13, v11, 20, 11
	v_sub_u32_e32 v14, 0x3f1, v8
	v_cndmask_b32_e64 v10, 0, 1, vcc
	v_and_or_b32 v3, v6, s12, v3
	v_sub_u32_e32 v15, 0x3f1, v13
	v_med3_i32 v6, v14, 0, 13
	v_and_or_b32 v10, v12, s12, v10
	v_or_b32_e32 v14, 0x1000, v3
	v_add_u32_e32 v8, 0xfffffc10, v8
	v_med3_i32 v12, v15, 0, 13
	v_cmp_ne_u32_e32 vcc, 0, v3
	v_or_b32_e32 v16, 0x1000, v10
	v_lshrrev_b32_e32 v18, v6, v14
	v_add_u32_e32 v13, 0xfffffc10, v13
	v_lshl_or_b32 v15, v8, 12, v3
	v_cndmask_b32_e64 v3, 0, 1, vcc
	v_cmp_ne_u32_e32 vcc, 0, v10
	v_lshrrev_b32_e32 v19, v12, v16
	v_lshlrev_b32_e32 v6, v6, v18
	v_lshl_or_b32 v17, v13, 12, v10
	v_cndmask_b32_e64 v10, 0, 1, vcc
	v_lshlrev_b32_e32 v12, v12, v19
	v_cmp_ne_u32_e32 vcc, v6, v14
	v_lshl_or_b32 v3, v3, 9, v2
	v_lshl_or_b32 v10, v10, 9, v2
	v_cndmask_b32_e64 v6, 0, 1, vcc
	v_cmp_ne_u32_e32 vcc, v12, v16
	v_or_b32_e32 v6, v18, v6
	v_and_b32_sdwa v9, v9, s11 dst_sel:DWORD dst_unused:UNUSED_PAD src0_sel:WORD_1 src1_sel:DWORD
	v_cndmask_b32_e64 v12, 0, 1, vcc
	v_cmp_gt_i32_e32 vcc, 1, v8
	v_or_b32_e32 v12, v19, v12
	v_lshrrev_b32_e32 v11, 16, v11
	v_cndmask_b32_e32 v6, v15, v6, vcc
	v_cmp_gt_i32_e32 vcc, 1, v13
	v_and_b32_e32 v14, 7, v6
	v_cmp_eq_u32_e64 s[0:1], 3, v14
	v_cndmask_b32_e32 v12, v17, v12, vcc
	v_cmp_lt_i32_e32 vcc, 5, v14
	v_lshrrev_b32_e32 v6, 2, v6
	v_and_b32_e32 v15, 7, v12
	s_or_b64 vcc, s[0:1], vcc
	v_cmp_lt_i32_e64 s[2:3], 5, v15
	v_cmp_eq_u32_e64 s[4:5], 3, v15
	v_addc_co_u32_e32 v6, vcc, 0, v6, vcc
	v_lshrrev_b32_e32 v12, 2, v12
	s_or_b64 vcc, s[4:5], s[2:3]
	v_addc_co_u32_e32 v12, vcc, 0, v12, vcc
	v_cmp_gt_i32_e32 vcc, 31, v8
	s_nop 1
	v_cndmask_b32_e32 v6, v2, v6, vcc
	v_cmp_gt_i32_e32 vcc, 31, v13
	s_nop 1
	v_cndmask_b32_e32 v12, v2, v12, vcc
	v_cmp_eq_u32_e32 vcc, s10, v8
	s_nop 1
	v_cndmask_b32_e32 v3, v6, v3, vcc
	v_cmp_eq_u32_e32 vcc, s10, v13
	v_bitop3_b32 v3, v9, s13, v3 bitop3:0xc8
	s_nop 0
	v_cndmask_b32_e32 v6, v12, v10, vcc
	v_and_or_b32 v6, v11, s11, v6
	v_lshl_or_b32 v3, v6, 16, v3
	global_store_dword v[4:5], v3, off
	global_load_dword v3, v[0:1], off offset:784
	v_lshrrev_b32_e32 v6, 16, v7
	v_lshl_add_u64 v[4:5], v[4:5], 0, s[8:9]
	s_waitcnt vmcnt(0)
	v_mul_f16_sdwa v8, v6, v3 dst_sel:DWORD dst_unused:UNUSED_PAD src0_sel:DWORD src1_sel:WORD_1
	v_mul_f16_sdwa v9, v7, v3 dst_sel:DWORD dst_unused:UNUSED_PAD src0_sel:DWORD src1_sel:WORD_1
	v_fma_f16 v7, v7, v3, v8
	v_fma_f16 v3, v3, v6, -v9
	v_cvt_f32_f16_e32 v6, v7
	v_cvt_f32_f16_e32 v3, v3
	v_cvt_f64_f32_e32 v[6:7], v6
	v_cvt_f64_f32_e32 v[8:9], v3
	v_mul_f64 v[6:7], v[6:7], s[6:7]
	v_mul_f64 v[8:9], v[8:9], s[6:7]
	v_and_or_b32 v3, v7, s14, v6
	v_and_or_b32 v8, v9, s14, v8
	v_cmp_ne_u32_e32 vcc, 0, v3
	v_lshrrev_b32_e32 v6, 8, v7
	v_bfe_u32 v10, v7, 20, 11
	v_cndmask_b32_e64 v3, 0, 1, vcc
	v_cmp_ne_u32_e32 vcc, 0, v8
	v_lshrrev_b32_e32 v11, 8, v9
	v_bfe_u32 v12, v9, 20, 11
	v_sub_u32_e32 v13, 0x3f1, v10
	v_cndmask_b32_e64 v8, 0, 1, vcc
	v_and_or_b32 v3, v6, s12, v3
	v_sub_u32_e32 v14, 0x3f1, v12
	v_med3_i32 v6, v13, 0, 13
	v_and_or_b32 v8, v11, s12, v8
	v_or_b32_e32 v13, 0x1000, v3
	v_add_u32_e32 v10, 0xfffffc10, v10
	v_med3_i32 v11, v14, 0, 13
	v_cmp_ne_u32_e32 vcc, 0, v3
	v_or_b32_e32 v15, 0x1000, v8
	v_lshrrev_b32_e32 v17, v6, v13
	v_add_u32_e32 v12, 0xfffffc10, v12
	v_lshl_or_b32 v14, v10, 12, v3
	v_cndmask_b32_e64 v3, 0, 1, vcc
	v_cmp_ne_u32_e32 vcc, 0, v8
	v_lshrrev_b32_e32 v18, v11, v15
	v_lshlrev_b32_e32 v6, v6, v17
	v_lshl_or_b32 v16, v12, 12, v8
	v_cndmask_b32_e64 v8, 0, 1, vcc
	v_lshlrev_b32_e32 v11, v11, v18
	v_cmp_ne_u32_e32 vcc, v6, v13
	v_lshl_or_b32 v3, v3, 9, v2
	v_lshl_or_b32 v8, v8, 9, v2
	v_cndmask_b32_e64 v6, 0, 1, vcc
	v_cmp_ne_u32_e32 vcc, v11, v15
	v_or_b32_e32 v6, v17, v6
	v_and_b32_sdwa v7, v7, s11 dst_sel:DWORD dst_unused:UNUSED_PAD src0_sel:WORD_1 src1_sel:DWORD
	v_cndmask_b32_e64 v11, 0, 1, vcc
	v_cmp_gt_i32_e32 vcc, 1, v10
	v_or_b32_e32 v11, v18, v11
	v_lshrrev_b32_e32 v9, 16, v9
	v_cndmask_b32_e32 v6, v14, v6, vcc
	v_cmp_gt_i32_e32 vcc, 1, v12
	v_and_b32_e32 v13, 7, v6
	v_cmp_eq_u32_e64 s[0:1], 3, v13
	v_cndmask_b32_e32 v11, v16, v11, vcc
	v_cmp_lt_i32_e32 vcc, 5, v13
	v_lshrrev_b32_e32 v6, 2, v6
	v_and_b32_e32 v14, 7, v11
	s_or_b64 vcc, s[0:1], vcc
	v_cmp_lt_i32_e64 s[2:3], 5, v14
	v_cmp_eq_u32_e64 s[4:5], 3, v14
	v_addc_co_u32_e32 v6, vcc, 0, v6, vcc
	v_lshrrev_b32_e32 v11, 2, v11
	s_or_b64 vcc, s[4:5], s[2:3]
	v_addc_co_u32_e32 v11, vcc, 0, v11, vcc
	v_cmp_gt_i32_e32 vcc, 31, v10
	s_nop 1
	v_cndmask_b32_e32 v6, v2, v6, vcc
	v_cmp_gt_i32_e32 vcc, 31, v12
	s_nop 1
	v_cndmask_b32_e32 v11, v2, v11, vcc
	v_cmp_eq_u32_e32 vcc, s10, v10
	s_nop 1
	v_cndmask_b32_e32 v3, v6, v3, vcc
	v_cmp_eq_u32_e32 vcc, s10, v12
	v_bitop3_b32 v3, v7, s13, v3 bitop3:0xc8
	s_nop 0
	v_cndmask_b32_e32 v6, v11, v8, vcc
	v_and_or_b32 v6, v9, s11, v6
	v_lshl_or_b32 v3, v6, 16, v3
	global_store_dword v[4:5], v3, off
	global_load_dword v3, v[0:1], off offset:1424
	v_add_u32_e32 v6, 0x1500, v37
	ds_read2_b32 v[6:7], v6 offset0:36 offset1:196
	v_lshl_add_u64 v[4:5], v[4:5], 0, s[8:9]
	s_waitcnt lgkmcnt(0)
	v_lshrrev_b32_e32 v8, 16, v6
	s_waitcnt vmcnt(0)
	v_mul_f16_sdwa v9, v8, v3 dst_sel:DWORD dst_unused:UNUSED_PAD src0_sel:DWORD src1_sel:WORD_1
	v_mul_f16_sdwa v10, v6, v3 dst_sel:DWORD dst_unused:UNUSED_PAD src0_sel:DWORD src1_sel:WORD_1
	v_fma_f16 v6, v6, v3, v9
	v_fma_f16 v3, v3, v8, -v10
	v_cvt_f32_f16_e32 v6, v6
	v_cvt_f32_f16_e32 v3, v3
	v_cvt_f64_f32_e32 v[8:9], v6
	v_cvt_f64_f32_e32 v[10:11], v3
	v_mul_f64 v[8:9], v[8:9], s[6:7]
	v_mul_f64 v[10:11], v[10:11], s[6:7]
	v_and_or_b32 v3, v9, s14, v8
	v_and_or_b32 v10, v11, s14, v10
	v_cmp_ne_u32_e32 vcc, 0, v3
	v_lshrrev_b32_e32 v6, 8, v9
	v_bfe_u32 v8, v9, 20, 11
	v_cndmask_b32_e64 v3, 0, 1, vcc
	v_cmp_ne_u32_e32 vcc, 0, v10
	v_lshrrev_b32_e32 v12, 8, v11
	v_bfe_u32 v13, v11, 20, 11
	v_sub_u32_e32 v14, 0x3f1, v8
	v_cndmask_b32_e64 v10, 0, 1, vcc
	v_and_or_b32 v3, v6, s12, v3
	v_sub_u32_e32 v15, 0x3f1, v13
	v_med3_i32 v6, v14, 0, 13
	v_and_or_b32 v10, v12, s12, v10
	v_or_b32_e32 v14, 0x1000, v3
	v_add_u32_e32 v8, 0xfffffc10, v8
	v_med3_i32 v12, v15, 0, 13
	v_cmp_ne_u32_e32 vcc, 0, v3
	v_or_b32_e32 v16, 0x1000, v10
	v_lshrrev_b32_e32 v18, v6, v14
	v_add_u32_e32 v13, 0xfffffc10, v13
	v_lshl_or_b32 v15, v8, 12, v3
	v_cndmask_b32_e64 v3, 0, 1, vcc
	v_cmp_ne_u32_e32 vcc, 0, v10
	v_lshrrev_b32_e32 v19, v12, v16
	v_lshlrev_b32_e32 v6, v6, v18
	v_lshl_or_b32 v17, v13, 12, v10
	v_cndmask_b32_e64 v10, 0, 1, vcc
	v_lshlrev_b32_e32 v12, v12, v19
	v_cmp_ne_u32_e32 vcc, v6, v14
	v_lshl_or_b32 v3, v3, 9, v2
	v_lshl_or_b32 v10, v10, 9, v2
	v_cndmask_b32_e64 v6, 0, 1, vcc
	v_cmp_ne_u32_e32 vcc, v12, v16
	v_or_b32_e32 v6, v18, v6
	v_and_b32_sdwa v9, v9, s11 dst_sel:DWORD dst_unused:UNUSED_PAD src0_sel:WORD_1 src1_sel:DWORD
	v_cndmask_b32_e64 v12, 0, 1, vcc
	v_cmp_gt_i32_e32 vcc, 1, v8
	v_or_b32_e32 v12, v19, v12
	v_lshrrev_b32_e32 v11, 16, v11
	v_cndmask_b32_e32 v6, v15, v6, vcc
	v_cmp_gt_i32_e32 vcc, 1, v13
	v_and_b32_e32 v14, 7, v6
	v_cmp_eq_u32_e64 s[0:1], 3, v14
	v_cndmask_b32_e32 v12, v17, v12, vcc
	v_cmp_lt_i32_e32 vcc, 5, v14
	v_lshrrev_b32_e32 v6, 2, v6
	v_and_b32_e32 v15, 7, v12
	s_or_b64 vcc, s[0:1], vcc
	v_cmp_lt_i32_e64 s[2:3], 5, v15
	v_cmp_eq_u32_e64 s[4:5], 3, v15
	v_addc_co_u32_e32 v6, vcc, 0, v6, vcc
	v_lshrrev_b32_e32 v12, 2, v12
	s_or_b64 vcc, s[4:5], s[2:3]
	v_addc_co_u32_e32 v12, vcc, 0, v12, vcc
	v_cmp_gt_i32_e32 vcc, 31, v8
	s_nop 1
	v_cndmask_b32_e32 v6, v2, v6, vcc
	v_cmp_gt_i32_e32 vcc, 31, v13
	s_nop 1
	v_cndmask_b32_e32 v12, v2, v12, vcc
	v_cmp_eq_u32_e32 vcc, s10, v8
	s_nop 1
	v_cndmask_b32_e32 v3, v6, v3, vcc
	v_cmp_eq_u32_e32 vcc, s10, v13
	v_bitop3_b32 v3, v9, s13, v3 bitop3:0xc8
	s_nop 0
	v_cndmask_b32_e32 v6, v12, v10, vcc
	v_and_or_b32 v6, v11, s11, v6
	v_lshl_or_b32 v3, v6, 16, v3
	global_store_dword v[4:5], v3, off
	global_load_dword v0, v[0:1], off offset:2064
	v_lshrrev_b32_e32 v1, 16, v7
	s_waitcnt vmcnt(0)
	v_mul_f16_sdwa v3, v1, v0 dst_sel:DWORD dst_unused:UNUSED_PAD src0_sel:DWORD src1_sel:WORD_1
	v_mul_f16_sdwa v6, v7, v0 dst_sel:DWORD dst_unused:UNUSED_PAD src0_sel:DWORD src1_sel:WORD_1
	v_fma_f16 v3, v7, v0, v3
	v_fma_f16 v0, v0, v1, -v6
	v_cvt_f32_f16_e32 v1, v3
	v_cvt_f32_f16_e32 v3, v0
	v_cvt_f64_f32_e32 v[0:1], v1
	v_cvt_f64_f32_e32 v[6:7], v3
	v_mul_f64 v[0:1], v[0:1], s[6:7]
	v_mul_f64 v[6:7], v[6:7], s[6:7]
	v_and_or_b32 v0, v1, s14, v0
	v_and_or_b32 v6, v7, s14, v6
	v_cmp_ne_u32_e32 vcc, 0, v0
	v_lshrrev_b32_e32 v3, 8, v1
	v_bfe_u32 v8, v1, 20, 11
	v_cndmask_b32_e64 v0, 0, 1, vcc
	v_cmp_ne_u32_e32 vcc, 0, v6
	v_lshrrev_b32_e32 v9, 8, v7
	v_bfe_u32 v10, v7, 20, 11
	v_sub_u32_e32 v11, 0x3f1, v8
	v_cndmask_b32_e64 v6, 0, 1, vcc
	v_and_or_b32 v0, v3, s12, v0
	v_sub_u32_e32 v12, 0x3f1, v10
	v_med3_i32 v3, v11, 0, 13
	v_and_or_b32 v6, v9, s12, v6
	v_or_b32_e32 v11, 0x1000, v0
	v_add_u32_e32 v8, 0xfffffc10, v8
	v_med3_i32 v9, v12, 0, 13
	v_cmp_ne_u32_e32 vcc, 0, v0
	v_or_b32_e32 v13, 0x1000, v6
	v_lshrrev_b32_e32 v15, v3, v11
	v_add_u32_e32 v10, 0xfffffc10, v10
	v_lshl_or_b32 v12, v8, 12, v0
	v_cndmask_b32_e64 v0, 0, 1, vcc
	v_cmp_ne_u32_e32 vcc, 0, v6
	v_lshrrev_b32_e32 v16, v9, v13
	v_lshlrev_b32_e32 v3, v3, v15
	v_lshl_or_b32 v14, v10, 12, v6
	v_cndmask_b32_e64 v6, 0, 1, vcc
	v_lshlrev_b32_e32 v9, v9, v16
	v_cmp_ne_u32_e32 vcc, v3, v11
	v_lshl_or_b32 v0, v0, 9, v2
	v_lshl_or_b32 v6, v6, 9, v2
	v_cndmask_b32_e64 v3, 0, 1, vcc
	v_cmp_ne_u32_e32 vcc, v9, v13
	v_or_b32_e32 v3, v15, v3
	v_and_b32_sdwa v1, v1, s11 dst_sel:DWORD dst_unused:UNUSED_PAD src0_sel:WORD_1 src1_sel:DWORD
	v_cndmask_b32_e64 v9, 0, 1, vcc
	v_cmp_gt_i32_e32 vcc, 1, v8
	v_or_b32_e32 v9, v16, v9
	v_lshrrev_b32_e32 v7, 16, v7
	v_cndmask_b32_e32 v3, v12, v3, vcc
	v_cmp_gt_i32_e32 vcc, 1, v10
	v_and_b32_e32 v11, 7, v3
	v_cmp_eq_u32_e64 s[0:1], 3, v11
	v_cndmask_b32_e32 v9, v14, v9, vcc
	v_cmp_lt_i32_e32 vcc, 5, v11
	v_lshrrev_b32_e32 v3, 2, v3
	v_and_b32_e32 v12, 7, v9
	s_or_b64 vcc, s[0:1], vcc
	v_cmp_lt_i32_e64 s[2:3], 5, v12
	v_cmp_eq_u32_e64 s[4:5], 3, v12
	v_addc_co_u32_e32 v3, vcc, 0, v3, vcc
	v_lshrrev_b32_e32 v9, 2, v9
	s_or_b64 vcc, s[4:5], s[2:3]
	v_addc_co_u32_e32 v9, vcc, 0, v9, vcc
	v_cmp_gt_i32_e32 vcc, 31, v8
	s_nop 1
	v_cndmask_b32_e32 v3, v2, v3, vcc
	v_cmp_gt_i32_e32 vcc, 31, v10
	s_nop 1
	v_cndmask_b32_e32 v2, v2, v9, vcc
	v_cmp_eq_u32_e32 vcc, s10, v8
	s_nop 1
	v_cndmask_b32_e32 v0, v3, v0, vcc
	v_cmp_eq_u32_e32 vcc, s10, v10
	v_bitop3_b32 v0, v1, s13, v0 bitop3:0xc8
	s_nop 0
	v_cndmask_b32_e32 v2, v2, v6, vcc
	v_and_or_b32 v2, v7, s11, v2
	v_lshl_or_b32 v2, v2, 16, v0
	v_lshl_add_u64 v[0:1], v[4:5], 0, s[8:9]
	global_store_dword v[0:1], v2, off
.LBB0_23:
	s_endpgm
	.section	.rodata,"a",@progbits
	.p2align	6, 0x0
	.amdhsa_kernel bluestein_single_fwd_len1600_dim1_half_op_CI_CI
		.amdhsa_group_segment_fixed_size 12800
		.amdhsa_private_segment_fixed_size 0
		.amdhsa_kernarg_size 104
		.amdhsa_user_sgpr_count 2
		.amdhsa_user_sgpr_dispatch_ptr 0
		.amdhsa_user_sgpr_queue_ptr 0
		.amdhsa_user_sgpr_kernarg_segment_ptr 1
		.amdhsa_user_sgpr_dispatch_id 0
		.amdhsa_user_sgpr_kernarg_preload_length 0
		.amdhsa_user_sgpr_kernarg_preload_offset 0
		.amdhsa_user_sgpr_private_segment_size 0
		.amdhsa_uses_dynamic_stack 0
		.amdhsa_enable_private_segment 0
		.amdhsa_system_sgpr_workgroup_id_x 1
		.amdhsa_system_sgpr_workgroup_id_y 0
		.amdhsa_system_sgpr_workgroup_id_z 0
		.amdhsa_system_sgpr_workgroup_info 0
		.amdhsa_system_vgpr_workitem_id 0
		.amdhsa_next_free_vgpr 125
		.amdhsa_next_free_sgpr 18
		.amdhsa_accum_offset 128
		.amdhsa_reserve_vcc 1
		.amdhsa_float_round_mode_32 0
		.amdhsa_float_round_mode_16_64 0
		.amdhsa_float_denorm_mode_32 3
		.amdhsa_float_denorm_mode_16_64 3
		.amdhsa_dx10_clamp 1
		.amdhsa_ieee_mode 1
		.amdhsa_fp16_overflow 0
		.amdhsa_tg_split 0
		.amdhsa_exception_fp_ieee_invalid_op 0
		.amdhsa_exception_fp_denorm_src 0
		.amdhsa_exception_fp_ieee_div_zero 0
		.amdhsa_exception_fp_ieee_overflow 0
		.amdhsa_exception_fp_ieee_underflow 0
		.amdhsa_exception_fp_ieee_inexact 0
		.amdhsa_exception_int_div_zero 0
	.end_amdhsa_kernel
	.text
.Lfunc_end0:
	.size	bluestein_single_fwd_len1600_dim1_half_op_CI_CI, .Lfunc_end0-bluestein_single_fwd_len1600_dim1_half_op_CI_CI
                                        ; -- End function
	.section	.AMDGPU.csdata,"",@progbits
; Kernel info:
; codeLenInByte = 29412
; NumSgprs: 24
; NumVgprs: 125
; NumAgprs: 0
; TotalNumVgprs: 125
; ScratchSize: 0
; MemoryBound: 0
; FloatMode: 240
; IeeeMode: 1
; LDSByteSize: 12800 bytes/workgroup (compile time only)
; SGPRBlocks: 2
; VGPRBlocks: 15
; NumSGPRsForWavesPerEU: 24
; NumVGPRsForWavesPerEU: 125
; AccumOffset: 128
; Occupancy: 4
; WaveLimiterHint : 1
; COMPUTE_PGM_RSRC2:SCRATCH_EN: 0
; COMPUTE_PGM_RSRC2:USER_SGPR: 2
; COMPUTE_PGM_RSRC2:TRAP_HANDLER: 0
; COMPUTE_PGM_RSRC2:TGID_X_EN: 1
; COMPUTE_PGM_RSRC2:TGID_Y_EN: 0
; COMPUTE_PGM_RSRC2:TGID_Z_EN: 0
; COMPUTE_PGM_RSRC2:TIDIG_COMP_CNT: 0
; COMPUTE_PGM_RSRC3_GFX90A:ACCUM_OFFSET: 31
; COMPUTE_PGM_RSRC3_GFX90A:TG_SPLIT: 0
	.text
	.p2alignl 6, 3212836864
	.fill 256, 4, 3212836864
	.type	__hip_cuid_9014979046510e48,@object ; @__hip_cuid_9014979046510e48
	.section	.bss,"aw",@nobits
	.globl	__hip_cuid_9014979046510e48
__hip_cuid_9014979046510e48:
	.byte	0                               ; 0x0
	.size	__hip_cuid_9014979046510e48, 1

	.ident	"AMD clang version 19.0.0git (https://github.com/RadeonOpenCompute/llvm-project roc-6.4.0 25133 c7fe45cf4b819c5991fe208aaa96edf142730f1d)"
	.section	".note.GNU-stack","",@progbits
	.addrsig
	.addrsig_sym __hip_cuid_9014979046510e48
	.amdgpu_metadata
---
amdhsa.kernels:
  - .agpr_count:     0
    .args:
      - .actual_access:  read_only
        .address_space:  global
        .offset:         0
        .size:           8
        .value_kind:     global_buffer
      - .actual_access:  read_only
        .address_space:  global
        .offset:         8
        .size:           8
        .value_kind:     global_buffer
      - .actual_access:  read_only
        .address_space:  global
        .offset:         16
        .size:           8
        .value_kind:     global_buffer
      - .actual_access:  read_only
        .address_space:  global
        .offset:         24
        .size:           8
        .value_kind:     global_buffer
      - .actual_access:  read_only
        .address_space:  global
        .offset:         32
        .size:           8
        .value_kind:     global_buffer
      - .offset:         40
        .size:           8
        .value_kind:     by_value
      - .address_space:  global
        .offset:         48
        .size:           8
        .value_kind:     global_buffer
      - .address_space:  global
        .offset:         56
        .size:           8
        .value_kind:     global_buffer
      - .address_space:  global
        .offset:         64
        .size:           8
        .value_kind:     global_buffer
      - .address_space:  global
        .offset:         72
        .size:           8
        .value_kind:     global_buffer
      - .offset:         80
        .size:           4
        .value_kind:     by_value
      - .address_space:  global
        .offset:         88
        .size:           8
        .value_kind:     global_buffer
      - .address_space:  global
        .offset:         96
        .size:           8
        .value_kind:     global_buffer
    .group_segment_fixed_size: 12800
    .kernarg_segment_align: 8
    .kernarg_segment_size: 104
    .language:       OpenCL C
    .language_version:
      - 2
      - 0
    .max_flat_workgroup_size: 200
    .name:           bluestein_single_fwd_len1600_dim1_half_op_CI_CI
    .private_segment_fixed_size: 0
    .sgpr_count:     24
    .sgpr_spill_count: 0
    .symbol:         bluestein_single_fwd_len1600_dim1_half_op_CI_CI.kd
    .uniform_work_group_size: 1
    .uses_dynamic_stack: false
    .vgpr_count:     125
    .vgpr_spill_count: 0
    .wavefront_size: 64
amdhsa.target:   amdgcn-amd-amdhsa--gfx950
amdhsa.version:
  - 1
  - 2
...

	.end_amdgpu_metadata
